;; amdgpu-corpus repo=ROCm/rocFFT kind=compiled arch=gfx950 opt=O3
	.text
	.amdgcn_target "amdgcn-amd-amdhsa--gfx950"
	.amdhsa_code_object_version 6
	.protected	fft_rtc_fwd_len3000_factors_10_3_10_10_wgs_100_tpt_100_halfLds_dp_ip_CI_unitstride_sbrr_R2C_dirReg ; -- Begin function fft_rtc_fwd_len3000_factors_10_3_10_10_wgs_100_tpt_100_halfLds_dp_ip_CI_unitstride_sbrr_R2C_dirReg
	.globl	fft_rtc_fwd_len3000_factors_10_3_10_10_wgs_100_tpt_100_halfLds_dp_ip_CI_unitstride_sbrr_R2C_dirReg
	.p2align	8
	.type	fft_rtc_fwd_len3000_factors_10_3_10_10_wgs_100_tpt_100_halfLds_dp_ip_CI_unitstride_sbrr_R2C_dirReg,@function
fft_rtc_fwd_len3000_factors_10_3_10_10_wgs_100_tpt_100_halfLds_dp_ip_CI_unitstride_sbrr_R2C_dirReg: ; @fft_rtc_fwd_len3000_factors_10_3_10_10_wgs_100_tpt_100_halfLds_dp_ip_CI_unitstride_sbrr_R2C_dirReg
; %bb.0:
	s_load_dwordx2 s[8:9], s[0:1], 0x50
	s_load_dwordx4 s[4:7], s[0:1], 0x0
	s_load_dwordx2 s[10:11], s[0:1], 0x18
	v_mul_u32_u24_e32 v1, 0x290, v0
	v_add_u32_sdwa v6, s2, v1 dst_sel:DWORD dst_unused:UNUSED_PAD src0_sel:DWORD src1_sel:WORD_1
	v_mov_b32_e32 v4, 0
	s_waitcnt lgkmcnt(0)
	v_cmp_lt_u64_e64 s[2:3], s[6:7], 2
	v_mov_b32_e32 v7, v4
	s_and_b64 vcc, exec, s[2:3]
	v_mov_b64_e32 v[2:3], 0
	s_cbranch_vccnz .LBB0_8
; %bb.1:
	s_load_dwordx2 s[2:3], s[0:1], 0x10
	s_add_u32 s12, s10, 8
	s_addc_u32 s13, s11, 0
	s_mov_b64 s[14:15], 1
	v_mov_b64_e32 v[2:3], 0
	s_waitcnt lgkmcnt(0)
	s_add_u32 s16, s2, 8
	s_addc_u32 s17, s3, 0
.LBB0_2:                                ; =>This Inner Loop Header: Depth=1
	s_load_dwordx2 s[18:19], s[16:17], 0x0
                                        ; implicit-def: $vgpr8_vgpr9
	s_waitcnt lgkmcnt(0)
	v_or_b32_e32 v5, s19, v7
	v_cmp_ne_u64_e32 vcc, 0, v[4:5]
	s_and_saveexec_b64 s[2:3], vcc
	s_xor_b64 s[20:21], exec, s[2:3]
	s_cbranch_execz .LBB0_4
; %bb.3:                                ;   in Loop: Header=BB0_2 Depth=1
	v_cvt_f32_u32_e32 v1, s18
	v_cvt_f32_u32_e32 v5, s19
	s_sub_u32 s2, 0, s18
	s_subb_u32 s3, 0, s19
	v_fmac_f32_e32 v1, 0x4f800000, v5
	v_rcp_f32_e32 v1, v1
	s_nop 0
	v_mul_f32_e32 v1, 0x5f7ffffc, v1
	v_mul_f32_e32 v5, 0x2f800000, v1
	v_trunc_f32_e32 v5, v5
	v_fmac_f32_e32 v1, 0xcf800000, v5
	v_cvt_u32_f32_e32 v5, v5
	v_cvt_u32_f32_e32 v1, v1
	v_mul_lo_u32 v8, s2, v5
	v_mul_hi_u32 v10, s2, v1
	v_mul_lo_u32 v9, s3, v1
	v_add_u32_e32 v10, v10, v8
	v_mul_lo_u32 v12, s2, v1
	v_add_u32_e32 v13, v10, v9
	v_mul_hi_u32 v8, v1, v12
	v_mul_hi_u32 v11, v1, v13
	v_mul_lo_u32 v10, v1, v13
	v_mov_b32_e32 v9, v4
	v_lshl_add_u64 v[8:9], v[8:9], 0, v[10:11]
	v_mul_hi_u32 v11, v5, v12
	v_mul_lo_u32 v12, v5, v12
	v_add_co_u32_e32 v8, vcc, v8, v12
	v_mul_hi_u32 v10, v5, v13
	s_nop 0
	v_addc_co_u32_e32 v8, vcc, v9, v11, vcc
	v_mov_b32_e32 v9, v4
	s_nop 0
	v_addc_co_u32_e32 v11, vcc, 0, v10, vcc
	v_mul_lo_u32 v10, v5, v13
	v_lshl_add_u64 v[8:9], v[8:9], 0, v[10:11]
	v_add_co_u32_e32 v1, vcc, v1, v8
	v_mul_lo_u32 v10, s2, v1
	s_nop 0
	v_addc_co_u32_e32 v5, vcc, v5, v9, vcc
	v_mul_lo_u32 v8, s2, v5
	v_mul_hi_u32 v9, s2, v1
	v_add_u32_e32 v8, v9, v8
	v_mul_lo_u32 v9, s3, v1
	v_add_u32_e32 v12, v8, v9
	v_mul_hi_u32 v14, v5, v10
	v_mul_lo_u32 v15, v5, v10
	v_mul_hi_u32 v9, v1, v12
	v_mul_lo_u32 v8, v1, v12
	v_mul_hi_u32 v10, v1, v10
	v_mov_b32_e32 v11, v4
	v_lshl_add_u64 v[8:9], v[10:11], 0, v[8:9]
	v_add_co_u32_e32 v8, vcc, v8, v15
	v_mul_hi_u32 v13, v5, v12
	s_nop 0
	v_addc_co_u32_e32 v8, vcc, v9, v14, vcc
	v_mul_lo_u32 v10, v5, v12
	s_nop 0
	v_addc_co_u32_e32 v11, vcc, 0, v13, vcc
	v_mov_b32_e32 v9, v4
	v_lshl_add_u64 v[8:9], v[8:9], 0, v[10:11]
	v_add_co_u32_e32 v1, vcc, v1, v8
	v_mul_hi_u32 v10, v6, v1
	s_nop 0
	v_addc_co_u32_e32 v5, vcc, v5, v9, vcc
	v_mad_u64_u32 v[8:9], s[2:3], v6, v5, 0
	v_mov_b32_e32 v11, v4
	v_lshl_add_u64 v[8:9], v[10:11], 0, v[8:9]
	v_mad_u64_u32 v[12:13], s[2:3], v7, v1, 0
	v_add_co_u32_e32 v1, vcc, v8, v12
	v_mad_u64_u32 v[10:11], s[2:3], v7, v5, 0
	s_nop 0
	v_addc_co_u32_e32 v8, vcc, v9, v13, vcc
	v_mov_b32_e32 v9, v4
	s_nop 0
	v_addc_co_u32_e32 v11, vcc, 0, v11, vcc
	v_lshl_add_u64 v[8:9], v[8:9], 0, v[10:11]
	v_mul_lo_u32 v1, s19, v8
	v_mul_lo_u32 v5, s18, v9
	v_mad_u64_u32 v[10:11], s[2:3], s18, v8, 0
	v_add3_u32 v1, v11, v5, v1
	v_sub_u32_e32 v5, v7, v1
	v_mov_b32_e32 v11, s19
	v_sub_co_u32_e32 v14, vcc, v6, v10
	v_lshl_add_u64 v[12:13], v[8:9], 0, 1
	s_nop 0
	v_subb_co_u32_e64 v5, s[2:3], v5, v11, vcc
	v_subrev_co_u32_e64 v10, s[2:3], s18, v14
	v_subb_co_u32_e32 v1, vcc, v7, v1, vcc
	s_nop 0
	v_subbrev_co_u32_e64 v5, s[2:3], 0, v5, s[2:3]
	v_cmp_le_u32_e64 s[2:3], s19, v5
	v_cmp_le_u32_e32 vcc, s19, v1
	s_nop 0
	v_cndmask_b32_e64 v11, 0, -1, s[2:3]
	v_cmp_le_u32_e64 s[2:3], s18, v10
	s_nop 1
	v_cndmask_b32_e64 v10, 0, -1, s[2:3]
	v_cmp_eq_u32_e64 s[2:3], s19, v5
	s_nop 1
	v_cndmask_b32_e64 v5, v11, v10, s[2:3]
	v_lshl_add_u64 v[10:11], v[8:9], 0, 2
	v_cmp_ne_u32_e64 s[2:3], 0, v5
	s_nop 1
	v_cndmask_b32_e64 v5, v13, v11, s[2:3]
	v_cndmask_b32_e64 v11, 0, -1, vcc
	v_cmp_le_u32_e32 vcc, s18, v14
	s_nop 1
	v_cndmask_b32_e64 v13, 0, -1, vcc
	v_cmp_eq_u32_e32 vcc, s19, v1
	s_nop 1
	v_cndmask_b32_e32 v1, v11, v13, vcc
	v_cmp_ne_u32_e32 vcc, 0, v1
	v_cndmask_b32_e64 v1, v12, v10, s[2:3]
	s_nop 0
	v_cndmask_b32_e32 v9, v9, v5, vcc
	v_cndmask_b32_e32 v8, v8, v1, vcc
.LBB0_4:                                ;   in Loop: Header=BB0_2 Depth=1
	s_andn2_saveexec_b64 s[2:3], s[20:21]
	s_cbranch_execz .LBB0_6
; %bb.5:                                ;   in Loop: Header=BB0_2 Depth=1
	v_cvt_f32_u32_e32 v1, s18
	s_sub_i32 s20, 0, s18
	v_rcp_iflag_f32_e32 v1, v1
	s_nop 0
	v_mul_f32_e32 v1, 0x4f7ffffe, v1
	v_cvt_u32_f32_e32 v1, v1
	v_mul_lo_u32 v5, s20, v1
	v_mul_hi_u32 v5, v1, v5
	v_add_u32_e32 v1, v1, v5
	v_mul_hi_u32 v1, v6, v1
	v_mul_lo_u32 v5, v1, s18
	v_sub_u32_e32 v5, v6, v5
	v_add_u32_e32 v8, 1, v1
	v_subrev_u32_e32 v9, s18, v5
	v_cmp_le_u32_e32 vcc, s18, v5
	s_nop 1
	v_cndmask_b32_e32 v5, v5, v9, vcc
	v_cndmask_b32_e32 v1, v1, v8, vcc
	v_add_u32_e32 v8, 1, v1
	v_cmp_le_u32_e32 vcc, s18, v5
	v_mov_b32_e32 v9, v4
	s_nop 0
	v_cndmask_b32_e32 v8, v1, v8, vcc
.LBB0_6:                                ;   in Loop: Header=BB0_2 Depth=1
	s_or_b64 exec, exec, s[2:3]
	v_mad_u64_u32 v[10:11], s[2:3], v8, s18, 0
	s_load_dwordx2 s[2:3], s[12:13], 0x0
	v_mul_lo_u32 v1, v9, s18
	v_mul_lo_u32 v5, v8, s19
	v_add3_u32 v1, v11, v5, v1
	v_sub_co_u32_e32 v5, vcc, v6, v10
	s_add_u32 s14, s14, 1
	s_nop 0
	v_subb_co_u32_e32 v1, vcc, v7, v1, vcc
	s_addc_u32 s15, s15, 0
	s_waitcnt lgkmcnt(0)
	v_mul_lo_u32 v1, s2, v1
	v_mul_lo_u32 v6, s3, v5
	v_mad_u64_u32 v[2:3], s[2:3], s2, v5, v[2:3]
	s_add_u32 s12, s12, 8
	v_add3_u32 v3, v6, v3, v1
	s_addc_u32 s13, s13, 0
	v_mov_b64_e32 v[6:7], s[6:7]
	s_add_u32 s16, s16, 8
	v_cmp_ge_u64_e32 vcc, s[14:15], v[6:7]
	s_addc_u32 s17, s17, 0
	s_cbranch_vccnz .LBB0_9
; %bb.7:                                ;   in Loop: Header=BB0_2 Depth=1
	v_mov_b64_e32 v[6:7], v[8:9]
	s_branch .LBB0_2
.LBB0_8:
	v_mov_b64_e32 v[8:9], v[6:7]
.LBB0_9:
	s_lshl_b64 s[2:3], s[6:7], 3
	s_add_u32 s2, s10, s2
	s_addc_u32 s3, s11, s3
	s_load_dwordx2 s[6:7], s[2:3], 0x0
	s_load_dwordx2 s[10:11], s[0:1], 0x20
	s_mov_b32 s2, 0x28f5c29
                                        ; implicit-def: $vgpr254_vgpr255
                                        ; implicit-def: $vgpr200_vgpr201
                                        ; implicit-def: $vgpr216_vgpr217
                                        ; implicit-def: $vgpr202
                                        ; implicit-def: $vgpr158
                                        ; implicit-def: $vgpr196
                                        ; implicit-def: $vgpr218
                                        ; implicit-def: $vgpr152
                                        ; implicit-def: $vgpr150
	s_waitcnt lgkmcnt(0)
	v_mul_lo_u32 v1, s6, v9
	v_mul_lo_u32 v4, s7, v8
	v_mad_u64_u32 v[2:3], s[0:1], s6, v8, v[2:3]
	v_add3_u32 v3, v4, v3, v1
	v_mul_hi_u32 v1, v0, s2
	v_mul_u32_u24_e32 v1, 0x64, v1
	v_cmp_gt_u64_e64 s[0:1], s[10:11], v[8:9]
	v_cmp_le_u64_e32 vcc, s[10:11], v[8:9]
	v_sub_u32_e32 v198, v0, v1
	s_and_saveexec_b64 s[2:3], vcc
	s_xor_b64 s[2:3], exec, s[2:3]
	s_cbranch_execz .LBB0_11
; %bb.10:
	v_add_u32_e32 v217, 0xc8, v198
	v_add_u32_e32 v201, 0x1f4, v198
	;; [unrolled: 1-line block ×9, first 2 shown]
	v_mov_b32_e32 v218, v217
	v_mov_b32_e32 v152, v201
	;; [unrolled: 1-line block ×3, first 2 shown]
.LBB0_11:
	s_or_saveexec_b64 s[2:3], s[2:3]
	v_lshl_add_u64 v[0:1], v[2:3], 4, s[8:9]
	v_accvgpr_write_b32 a0, v0
	v_accvgpr_write_b32 a1, v1
	s_xor_b64 exec, exec, s[2:3]
	s_cbranch_execz .LBB0_13
; %bb.12:
	v_accvgpr_read_b32 v29, a1
	v_mov_b32_e32 v199, 0
	v_accvgpr_read_b32 v28, a0
	v_lshl_add_u64 v[112:113], v[198:199], 4, v[28:29]
	s_movk_i32 s6, 0x3000
	v_add_co_u32_e32 v76, vcc, s6, v112
	s_movk_i32 s7, 0x4000
	s_nop 0
	v_addc_co_u32_e32 v77, vcc, 0, v113, vcc
	v_add_co_u32_e32 v78, vcc, s7, v112
	s_movk_i32 s8, 0x5000
	s_nop 0
	v_addc_co_u32_e32 v79, vcc, 0, v113, vcc
	;; [unrolled: 4-line block ×4, first 2 shown]
	v_add_co_u32_e32 v96, vcc, s6, v112
	s_mov_b32 s6, 0x8000
	s_nop 0
	v_addc_co_u32_e32 v97, vcc, 0, v113, vcc
	v_add_u32_e32 v217, 0xc8, v198
	v_add_co_u32_e32 v98, vcc, s6, v112
	v_add_u32_e32 v216, 0x12c, v198
	v_mov_b32_e32 v8, v217
	v_mov_b32_e32 v9, v199
	v_addc_co_u32_e32 v99, vcc, 0, v113, vcc
	s_mov_b32 s6, 0x9000
	v_lshl_add_u64 v[16:17], v[8:9], 4, v[28:29]
	v_mov_b32_e32 v8, v216
	v_add_u32_e32 v200, 0x190, v198
	v_add_co_u32_e32 v104, vcc, s6, v112
	global_load_dwordx4 v[0:3], v[112:113], off
	global_load_dwordx4 v[4:7], v[112:113], off offset:1600
	v_lshl_add_u64 v[18:19], v[8:9], 4, v[28:29]
	global_load_dwordx4 v[8:11], v[16:17], off
	global_load_dwordx4 v[12:15], v[18:19], off
	v_add_u32_e32 v201, 0x1f4, v198
	v_mov_b32_e32 v16, v200
	v_mov_b32_e32 v17, v199
	v_addc_co_u32_e32 v105, vcc, 0, v113, vcc
	v_lshl_add_u64 v[24:25], v[16:17], 4, v[28:29]
	v_mov_b32_e32 v16, v201
	v_add_u32_e32 v254, 0x258, v198
	v_add_co_u32_e32 v114, vcc, 0xa000, v112
	v_lshl_add_u64 v[26:27], v[16:17], 4, v[28:29]
	global_load_dwordx4 v[16:19], v[24:25], off
	global_load_dwordx4 v[20:23], v[26:27], off
	v_mov_b32_e32 v24, v254
	v_mov_b32_e32 v25, v199
	v_add_u32_e32 v255, 0x2bc, v198
	v_addc_co_u32_e32 v115, vcc, 0, v113, vcc
	v_lshl_add_u64 v[72:73], v[24:25], 4, v[28:29]
	v_mov_b32_e32 v24, v255
	v_add_co_u32_e32 v116, vcc, 0xb000, v112
	v_lshl_add_u64 v[74:75], v[24:25], 4, v[28:29]
	s_nop 0
	v_addc_co_u32_e32 v117, vcc, 0, v113, vcc
	global_load_dwordx4 v[24:27], v[72:73], off
	global_load_dwordx4 v[28:31], v[74:75], off
	global_load_dwordx4 v[32:35], v[76:77], off offset:512
	global_load_dwordx4 v[36:39], v[76:77], off offset:2112
	global_load_dwordx4 v[40:43], v[76:77], off offset:3712
	global_load_dwordx4 v[44:47], v[78:79], off offset:1216
	global_load_dwordx4 v[48:51], v[78:79], off offset:2816
	global_load_dwordx4 v[52:55], v[80:81], off offset:320
	global_load_dwordx4 v[56:59], v[80:81], off offset:1920
	global_load_dwordx4 v[60:63], v[80:81], off offset:3520
	global_load_dwordx4 v[64:67], v[82:83], off offset:1024
	global_load_dwordx4 v[68:71], v[82:83], off offset:2624
	s_nop 0
	global_load_dwordx4 v[72:75], v[96:97], off offset:128
	global_load_dwordx4 v[76:79], v[96:97], off offset:1728
	;; [unrolled: 1-line block ×6, first 2 shown]
	s_nop 0
	global_load_dwordx4 v[96:99], v[104:105], off offset:1536
	global_load_dwordx4 v[100:103], v[104:105], off offset:3136
	s_nop 0
	global_load_dwordx4 v[104:107], v[114:115], off offset:640
	global_load_dwordx4 v[108:111], v[114:115], off offset:2240
	s_nop 0
	global_load_dwordx4 v[112:115], v[114:115], off offset:3840
	s_nop 0
	global_load_dwordx4 v[116:119], v[116:117], off offset:1344
	v_lshl_add_u32 v120, v198, 4, 0
	v_lshl_add_u32 v121, v217, 4, 0
	;; [unrolled: 1-line block ×6, first 2 shown]
	v_add_u32_e32 v202, 0x64, v198
	v_add_u32_e32 v158, 0x320, v198
	s_waitcnt vmcnt(29)
	ds_write_b128 v120, v[0:3]
	s_waitcnt vmcnt(28)
	ds_write_b128 v120, v[4:7] offset:1600
	s_waitcnt vmcnt(27)
	ds_write_b128 v121, v[8:11]
	s_waitcnt vmcnt(26)
	ds_write_b128 v122, v[12:15]
	;; [unrolled: 2-line block ×5, first 2 shown]
	v_lshl_add_u32 v0, v255, 4, 0
	v_add_u32_e32 v196, 0x384, v198
	v_mov_b32_e32 v150, v255
	v_mov_b32_e32 v152, v201
	;; [unrolled: 1-line block ×3, first 2 shown]
	s_waitcnt vmcnt(22)
	ds_write_b128 v0, v[28:31]
	s_waitcnt vmcnt(21)
	ds_write_b128 v120, v[32:35] offset:12800
	s_waitcnt vmcnt(20)
	ds_write_b128 v120, v[36:39] offset:14400
	s_waitcnt vmcnt(19)
	ds_write_b128 v120, v[40:43] offset:16000
	s_waitcnt vmcnt(18)
	ds_write_b128 v120, v[44:47] offset:17600
	s_waitcnt vmcnt(17)
	ds_write_b128 v120, v[48:51] offset:19200
	s_waitcnt vmcnt(16)
	ds_write_b128 v120, v[52:55] offset:20800
	s_waitcnt vmcnt(15)
	ds_write_b128 v120, v[56:59] offset:22400
	s_waitcnt vmcnt(14)
	ds_write_b128 v120, v[60:63] offset:24000
	s_waitcnt vmcnt(13)
	ds_write_b128 v120, v[64:67] offset:25600
	s_waitcnt vmcnt(12)
	ds_write_b128 v120, v[68:71] offset:27200
	s_waitcnt vmcnt(11)
	ds_write_b128 v120, v[72:75] offset:28800
	s_waitcnt vmcnt(10)
	ds_write_b128 v120, v[76:79] offset:30400
	s_waitcnt vmcnt(9)
	ds_write_b128 v120, v[80:83] offset:32000
	s_waitcnt vmcnt(8)
	ds_write_b128 v120, v[84:87] offset:33600
	s_waitcnt vmcnt(7)
	ds_write_b128 v120, v[88:91] offset:35200
	s_waitcnt vmcnt(6)
	ds_write_b128 v120, v[92:95] offset:36800
	s_waitcnt vmcnt(5)
	ds_write_b128 v120, v[96:99] offset:38400
	s_waitcnt vmcnt(4)
	ds_write_b128 v120, v[100:103] offset:40000
	s_waitcnt vmcnt(3)
	ds_write_b128 v120, v[104:107] offset:41600
	s_waitcnt vmcnt(2)
	ds_write_b128 v120, v[108:111] offset:43200
	s_waitcnt vmcnt(1)
	ds_write_b128 v120, v[112:115] offset:44800
	s_waitcnt vmcnt(0)
	ds_write_b128 v120, v[116:119] offset:46400
.LBB0_13:
	s_or_b64 exec, exec, s[2:3]
	v_lshlrev_b32_e32 v0, 4, v198
	v_add_u32_e32 v244, 0, v0
	s_waitcnt lgkmcnt(0)
	s_barrier
	v_accvgpr_write_b32 a3, v0
	ds_read_b128 v[56:59], v244
	ds_read_b128 v[42:45], v244 offset:4800
	ds_read_b128 v[84:87], v244 offset:6400
	;; [unrolled: 1-line block ×29, first 2 shown]
	s_waitcnt lgkmcnt(14)
	v_add_f64 v[40:41], v[56:57], v[122:123]
	s_waitcnt lgkmcnt(12)
	v_add_f64 v[40:41], v[40:41], v[126:127]
	;; [unrolled: 2-line block ×4, first 2 shown]
	v_add_f64 v[40:41], v[126:127], v[130:131]
	s_mov_b32 s10, 0x134454ff
	v_fma_f64 v[46:47], -0.5, v[40:41], v[56:57]
	v_add_f64 v[40:41], v[124:125], -v[136:137]
	s_mov_b32 s11, 0x3fee6f0e
	s_mov_b32 s12, 0x4755a5e
	;; [unrolled: 1-line block ×4, first 2 shown]
	v_fma_f64 v[50:51], s[10:11], v[40:41], v[46:47]
	v_add_f64 v[60:61], v[128:129], -v[132:133]
	s_mov_b32 s13, 0x3fe2cf23
	v_add_f64 v[62:63], v[122:123], -v[126:127]
	v_add_f64 v[72:73], v[134:135], -v[130:131]
	s_mov_b32 s6, 0x372fe950
	v_fmac_f64_e32 v[46:47], s[8:9], v[40:41]
	s_mov_b32 s3, 0xbfe2cf23
	s_mov_b32 s2, s12
	v_fmac_f64_e32 v[50:51], s[12:13], v[60:61]
	v_add_f64 v[62:63], v[62:63], v[72:73]
	s_mov_b32 s7, 0x3fd3c6ef
	v_fmac_f64_e32 v[46:47], s[2:3], v[60:61]
	v_fmac_f64_e32 v[50:51], s[6:7], v[62:63]
	;; [unrolled: 1-line block ×3, first 2 shown]
	v_add_f64 v[62:63], v[122:123], v[134:135]
	v_fmac_f64_e32 v[56:57], -0.5, v[62:63]
	v_fma_f64 v[72:73], s[8:9], v[60:61], v[56:57]
	v_fmac_f64_e32 v[56:57], s[10:11], v[60:61]
	v_fmac_f64_e32 v[72:73], s[12:13], v[40:41]
	;; [unrolled: 1-line block ×3, first 2 shown]
	v_add_f64 v[40:41], v[58:59], v[124:125]
	v_add_f64 v[62:63], v[126:127], -v[122:123]
	v_add_f64 v[74:75], v[130:131], -v[134:135]
	v_add_f64 v[40:41], v[40:41], v[128:129]
	v_add_f64 v[62:63], v[62:63], v[74:75]
	;; [unrolled: 1-line block ×3, first 2 shown]
	v_fmac_f64_e32 v[72:73], s[6:7], v[62:63]
	v_fmac_f64_e32 v[56:57], s[6:7], v[62:63]
	v_add_f64 v[62:63], v[40:41], v[136:137]
	v_add_f64 v[40:41], v[128:129], v[132:133]
	v_fma_f64 v[120:121], -0.5, v[40:41], v[58:59]
	v_add_f64 v[40:41], v[122:123], -v[134:135]
	v_fma_f64 v[74:75], s[8:9], v[40:41], v[120:121]
	v_add_f64 v[60:61], v[126:127], -v[130:131]
	v_add_f64 v[122:123], v[124:125], -v[128:129]
	;; [unrolled: 1-line block ×3, first 2 shown]
	v_fmac_f64_e32 v[120:121], s[10:11], v[40:41]
	v_fmac_f64_e32 v[74:75], s[2:3], v[60:61]
	v_add_f64 v[122:123], v[122:123], v[126:127]
	v_fmac_f64_e32 v[120:121], s[12:13], v[60:61]
	v_fmac_f64_e32 v[74:75], s[6:7], v[122:123]
	;; [unrolled: 1-line block ×3, first 2 shown]
	v_add_f64 v[122:123], v[124:125], v[136:137]
	v_fmac_f64_e32 v[58:59], -0.5, v[122:123]
	v_fma_f64 v[122:123], s[10:11], v[60:61], v[58:59]
	v_fmac_f64_e32 v[58:59], s[8:9], v[60:61]
	v_fmac_f64_e32 v[122:123], s[2:3], v[40:41]
	;; [unrolled: 1-line block ×3, first 2 shown]
	v_add_f64 v[40:41], v[42:43], v[24:25]
	v_add_f64 v[40:41], v[40:41], v[28:29]
	v_add_f64 v[124:125], v[128:129], -v[124:125]
	v_add_f64 v[126:127], v[132:133], -v[136:137]
	v_add_f64 v[40:41], v[40:41], v[32:33]
	v_add_f64 v[124:125], v[124:125], v[126:127]
	;; [unrolled: 1-line block ×4, first 2 shown]
	v_fmac_f64_e32 v[122:123], s[6:7], v[124:125]
	v_fmac_f64_e32 v[58:59], s[6:7], v[124:125]
	v_fma_f64 v[124:125], -0.5, v[40:41], v[42:43]
	v_add_f64 v[40:41], v[26:27], -v[38:39]
	v_fma_f64 v[126:127], s[10:11], v[40:41], v[124:125]
	v_add_f64 v[128:129], v[30:31], -v[34:35]
	v_add_f64 v[130:131], v[24:25], -v[28:29]
	;; [unrolled: 1-line block ×3, first 2 shown]
	v_fmac_f64_e32 v[124:125], s[8:9], v[40:41]
	v_fmac_f64_e32 v[126:127], s[12:13], v[128:129]
	v_add_f64 v[130:131], v[130:131], v[132:133]
	v_fmac_f64_e32 v[124:125], s[2:3], v[128:129]
	v_fmac_f64_e32 v[126:127], s[6:7], v[130:131]
	;; [unrolled: 1-line block ×3, first 2 shown]
	v_add_f64 v[130:131], v[24:25], v[36:37]
	v_fmac_f64_e32 v[42:43], -0.5, v[130:131]
	v_fma_f64 v[130:131], s[8:9], v[128:129], v[42:43]
	v_fmac_f64_e32 v[42:43], s[10:11], v[128:129]
	v_fmac_f64_e32 v[130:131], s[12:13], v[40:41]
	;; [unrolled: 1-line block ×3, first 2 shown]
	v_add_f64 v[40:41], v[44:45], v[26:27]
	v_add_f64 v[40:41], v[40:41], v[30:31]
	v_add_f64 v[132:133], v[28:29], -v[24:25]
	v_add_f64 v[134:135], v[32:33], -v[36:37]
	v_add_f64 v[40:41], v[40:41], v[34:35]
	v_add_f64 v[132:133], v[132:133], v[134:135]
	;; [unrolled: 1-line block ×4, first 2 shown]
	v_fmac_f64_e32 v[130:131], s[6:7], v[132:133]
	v_fmac_f64_e32 v[42:43], s[6:7], v[132:133]
	v_fma_f64 v[132:133], -0.5, v[40:41], v[44:45]
	v_add_f64 v[24:25], v[24:25], -v[36:37]
	v_fma_f64 v[134:135], s[8:9], v[24:25], v[132:133]
	v_add_f64 v[28:29], v[28:29], -v[32:33]
	v_add_f64 v[32:33], v[26:27], -v[30:31]
	;; [unrolled: 1-line block ×3, first 2 shown]
	v_fmac_f64_e32 v[132:133], s[10:11], v[24:25]
	v_fmac_f64_e32 v[134:135], s[2:3], v[28:29]
	v_add_f64 v[32:33], v[32:33], v[36:37]
	v_fmac_f64_e32 v[132:133], s[12:13], v[28:29]
	v_fmac_f64_e32 v[134:135], s[6:7], v[32:33]
	;; [unrolled: 1-line block ×3, first 2 shown]
	v_add_f64 v[32:33], v[26:27], v[38:39]
	v_fmac_f64_e32 v[44:45], -0.5, v[32:33]
	v_fma_f64 v[136:137], s[10:11], v[28:29], v[44:45]
	v_add_f64 v[26:27], v[30:31], -v[26:27]
	v_add_f64 v[30:31], v[34:35], -v[38:39]
	v_fmac_f64_e32 v[44:45], s[8:9], v[28:29]
	v_add_f64 v[26:27], v[26:27], v[30:31]
	v_fmac_f64_e32 v[44:45], s[12:13], v[24:25]
	s_mov_b32 s14, 0x9b97f4a8
	v_fmac_f64_e32 v[44:45], s[6:7], v[26:27]
	s_mov_b32 s15, 0x3fe9e377
	v_fmac_f64_e32 v[136:137], s[2:3], v[24:25]
	v_mul_f64 v[138:139], v[126:127], s[14:15]
	v_mul_f64 v[126:127], v[126:127], s[2:3]
	;; [unrolled: 1-line block ×3, first 2 shown]
	v_fmac_f64_e32 v[136:137], s[6:7], v[26:27]
	v_fmac_f64_e32 v[138:139], s[12:13], v[134:135]
	v_mul_f64 v[26:27], v[42:43], s[6:7]
	v_fmac_f64_e32 v[126:127], s[14:15], v[134:135]
	v_fma_f64 v[134:135], v[42:43], s[8:9], -v[38:39]
	v_mul_f64 v[38:39], v[132:133], s[14:15]
	v_fma_f64 v[142:143], v[44:45], s[10:11], -v[26:27]
	v_mul_f64 v[26:27], v[124:125], s[14:15]
	v_fma_f64 v[124:125], v[124:125], s[2:3], -v[38:39]
	v_add_f64 v[32:33], v[48:49], v[60:61]
	v_add_f64 v[28:29], v[50:51], v[138:139]
	;; [unrolled: 1-line block ×5, first 2 shown]
	v_add_f64 v[60:61], v[48:49], -v[60:61]
	v_add_f64 v[48:49], v[50:51], -v[138:139]
	;; [unrolled: 1-line block ×5, first 2 shown]
	v_add_f64 v[120:121], v[80:81], v[104:105]
	v_add_f64 v[120:121], v[120:121], v[108:109]
	v_mul_f64 v[140:141], v[136:137], s[10:11]
	v_add_f64 v[120:121], v[120:121], v[112:113]
	v_fmac_f64_e32 v[140:141], s[6:7], v[130:131]
	v_mul_f64 v[130:131], v[130:131], s[8:9]
	s_waitcnt lgkmcnt(2)
	v_add_f64 v[126:127], v[120:121], v[116:117]
	v_add_f64 v[120:121], v[108:109], v[112:113]
	v_fma_f64 v[144:145], v[132:133], s[12:13], -v[26:27]
	v_fmac_f64_e32 v[130:131], s[6:7], v[136:137]
	v_fma_f64 v[124:125], -0.5, v[120:121], v[80:81]
	v_add_f64 v[120:121], v[106:107], -v[118:119]
	v_add_f64 v[24:25], v[72:73], v[140:141]
	v_add_f64 v[40:41], v[56:57], v[142:143]
	;; [unrolled: 1-line block ×5, first 2 shown]
	v_add_f64 v[44:45], v[72:73], -v[140:141]
	v_add_f64 v[72:73], v[56:57], -v[142:143]
	;; [unrolled: 1-line block ×5, first 2 shown]
	v_fma_f64 v[128:129], s[10:11], v[120:121], v[124:125]
	v_add_f64 v[122:123], v[110:111], -v[114:115]
	v_add_f64 v[130:131], v[104:105], -v[108:109]
	;; [unrolled: 1-line block ×3, first 2 shown]
	v_fmac_f64_e32 v[124:125], s[8:9], v[120:121]
	v_fmac_f64_e32 v[128:129], s[12:13], v[122:123]
	v_add_f64 v[130:131], v[130:131], v[132:133]
	v_fmac_f64_e32 v[124:125], s[2:3], v[122:123]
	v_fmac_f64_e32 v[128:129], s[6:7], v[130:131]
	;; [unrolled: 1-line block ×3, first 2 shown]
	v_add_f64 v[130:131], v[104:105], v[116:117]
	v_fmac_f64_e32 v[80:81], -0.5, v[130:131]
	v_fma_f64 v[134:135], s[8:9], v[122:123], v[80:81]
	v_fmac_f64_e32 v[80:81], s[10:11], v[122:123]
	v_fmac_f64_e32 v[134:135], s[12:13], v[120:121]
	;; [unrolled: 1-line block ×3, first 2 shown]
	v_add_f64 v[120:121], v[82:83], v[106:107]
	v_add_f64 v[130:131], v[108:109], -v[104:105]
	v_add_f64 v[132:133], v[112:113], -v[116:117]
	v_add_f64 v[120:121], v[120:121], v[110:111]
	v_add_f64 v[130:131], v[130:131], v[132:133]
	;; [unrolled: 1-line block ×3, first 2 shown]
	v_fmac_f64_e32 v[134:135], s[6:7], v[130:131]
	v_fmac_f64_e32 v[80:81], s[6:7], v[130:131]
	v_add_f64 v[130:131], v[120:121], v[118:119]
	v_add_f64 v[120:121], v[110:111], v[114:115]
	v_fma_f64 v[120:121], -0.5, v[120:121], v[82:83]
	v_add_f64 v[104:105], v[104:105], -v[116:117]
	v_fma_f64 v[122:123], s[8:9], v[104:105], v[120:121]
	v_add_f64 v[108:109], v[108:109], -v[112:113]
	v_add_f64 v[112:113], v[106:107], -v[110:111]
	;; [unrolled: 1-line block ×3, first 2 shown]
	v_fmac_f64_e32 v[120:121], s[10:11], v[104:105]
	v_fmac_f64_e32 v[122:123], s[2:3], v[108:109]
	v_add_f64 v[112:113], v[112:113], v[116:117]
	v_fmac_f64_e32 v[120:121], s[12:13], v[108:109]
	v_fmac_f64_e32 v[122:123], s[6:7], v[112:113]
	;; [unrolled: 1-line block ×3, first 2 shown]
	v_add_f64 v[112:113], v[106:107], v[118:119]
	v_fmac_f64_e32 v[82:83], -0.5, v[112:113]
	v_fma_f64 v[132:133], s[10:11], v[108:109], v[82:83]
	v_fmac_f64_e32 v[82:83], s[8:9], v[108:109]
	v_fmac_f64_e32 v[132:133], s[2:3], v[104:105]
	;; [unrolled: 1-line block ×3, first 2 shown]
	v_add_f64 v[104:105], v[84:85], v[88:89]
	v_add_f64 v[104:105], v[104:105], v[92:93]
	;; [unrolled: 1-line block ×3, first 2 shown]
	v_add_f64 v[106:107], v[110:111], -v[106:107]
	v_add_f64 v[110:111], v[114:115], -v[118:119]
	v_add_f64 v[108:109], v[104:105], v[100:101]
	v_add_f64 v[104:105], v[92:93], v[96:97]
	;; [unrolled: 1-line block ×3, first 2 shown]
	v_fma_f64 v[110:111], -0.5, v[104:105], v[84:85]
	v_add_f64 v[104:105], v[90:91], -v[102:103]
	v_fmac_f64_e32 v[132:133], s[6:7], v[106:107]
	v_fmac_f64_e32 v[82:83], s[6:7], v[106:107]
	v_fma_f64 v[106:107], s[10:11], v[104:105], v[110:111]
	v_add_f64 v[112:113], v[94:95], -v[98:99]
	v_add_f64 v[114:115], v[88:89], -v[92:93]
	;; [unrolled: 1-line block ×3, first 2 shown]
	v_fmac_f64_e32 v[110:111], s[8:9], v[104:105]
	v_fmac_f64_e32 v[106:107], s[12:13], v[112:113]
	v_add_f64 v[114:115], v[114:115], v[116:117]
	v_fmac_f64_e32 v[110:111], s[2:3], v[112:113]
	v_fmac_f64_e32 v[106:107], s[6:7], v[114:115]
	;; [unrolled: 1-line block ×3, first 2 shown]
	v_add_f64 v[114:115], v[88:89], v[100:101]
	v_fmac_f64_e32 v[84:85], -0.5, v[114:115]
	v_fma_f64 v[114:115], s[8:9], v[112:113], v[84:85]
	v_fmac_f64_e32 v[84:85], s[10:11], v[112:113]
	v_fmac_f64_e32 v[114:115], s[12:13], v[104:105]
	;; [unrolled: 1-line block ×3, first 2 shown]
	v_add_f64 v[104:105], v[86:87], v[90:91]
	v_add_f64 v[104:105], v[104:105], v[94:95]
	v_add_f64 v[116:117], v[92:93], -v[88:89]
	v_add_f64 v[118:119], v[96:97], -v[100:101]
	v_add_f64 v[104:105], v[104:105], v[98:99]
	v_add_f64 v[116:117], v[116:117], v[118:119]
	;; [unrolled: 1-line block ×4, first 2 shown]
	v_fma_f64 v[112:113], -0.5, v[104:105], v[86:87]
	v_add_f64 v[88:89], v[88:89], -v[100:101]
	v_fmac_f64_e32 v[114:115], s[6:7], v[116:117]
	v_fmac_f64_e32 v[84:85], s[6:7], v[116:117]
	v_fma_f64 v[116:117], s[8:9], v[88:89], v[112:113]
	v_add_f64 v[92:93], v[92:93], -v[96:97]
	v_add_f64 v[96:97], v[90:91], -v[94:95]
	;; [unrolled: 1-line block ×3, first 2 shown]
	v_fmac_f64_e32 v[112:113], s[10:11], v[88:89]
	v_fmac_f64_e32 v[116:117], s[2:3], v[92:93]
	v_add_f64 v[96:97], v[96:97], v[100:101]
	v_fmac_f64_e32 v[112:113], s[12:13], v[92:93]
	v_fmac_f64_e32 v[116:117], s[6:7], v[96:97]
	;; [unrolled: 1-line block ×3, first 2 shown]
	v_add_f64 v[96:97], v[90:91], v[102:103]
	v_fmac_f64_e32 v[86:87], -0.5, v[96:97]
	v_fma_f64 v[136:137], s[10:11], v[92:93], v[86:87]
	v_add_f64 v[90:91], v[94:95], -v[90:91]
	v_add_f64 v[94:95], v[98:99], -v[102:103]
	v_fmac_f64_e32 v[86:87], s[8:9], v[92:93]
	v_fmac_f64_e32 v[136:137], s[2:3], v[88:89]
	v_add_f64 v[90:91], v[90:91], v[94:95]
	v_fmac_f64_e32 v[86:87], s[12:13], v[88:89]
	v_fmac_f64_e32 v[136:137], s[6:7], v[90:91]
	;; [unrolled: 1-line block ×3, first 2 shown]
	v_mul_f64 v[90:91], v[84:85], s[6:7]
	v_fma_f64 v[142:143], v[86:87], s[10:11], -v[90:91]
	v_mul_f64 v[86:87], v[86:87], s[6:7]
	v_mul_f64 v[148:149], v[114:115], s[8:9]
	v_fma_f64 v[86:87], v[84:85], s[8:9], -v[86:87]
	v_mul_f64 v[84:85], v[112:113], s[14:15]
	v_mul_f64 v[140:141], v[136:137], s[10:11]
	v_fmac_f64_e32 v[148:149], s[6:7], v[136:137]
	v_fma_f64 v[136:137], v[110:111], s[2:3], -v[84:85]
	v_mul_f64 v[138:139], v[106:107], s[14:15]
	v_mul_f64 v[146:147], v[106:107], s[2:3]
	v_add_f64 v[106:107], v[82:83], v[86:87]
	v_add_f64 v[102:103], v[120:121], v[136:137]
	v_add_f64 v[86:87], v[82:83], -v[86:87]
	v_add_f64 v[82:83], v[120:121], -v[136:137]
	v_add_f64 v[120:121], v[0:1], v[64:65]
	v_add_f64 v[120:121], v[120:121], v[76:77]
	v_mul_f64 v[90:91], v[110:111], s[14:15]
	v_fmac_f64_e32 v[146:147], s[14:15], v[116:117]
	v_add_f64 v[120:121], v[120:121], v[52:53]
	v_fmac_f64_e32 v[140:141], s[6:7], v[114:115]
	v_fma_f64 v[144:145], v[112:113], s[12:13], -v[90:91]
	v_add_f64 v[94:95], v[122:123], v[146:147]
	v_add_f64 v[114:115], v[122:123], -v[146:147]
	s_waitcnt lgkmcnt(1)
	v_add_f64 v[122:123], v[120:121], v[68:69]
	v_add_f64 v[120:121], v[76:77], v[52:53]
	v_fmac_f64_e32 v[138:139], s[12:13], v[116:117]
	v_add_f64 v[104:105], v[80:81], v[142:143]
	v_add_f64 v[100:101], v[124:125], v[144:145]
	v_add_f64 v[84:85], v[80:81], -v[142:143]
	v_add_f64 v[80:81], v[124:125], -v[144:145]
	v_fma_f64 v[124:125], -0.5, v[120:121], v[0:1]
	v_add_f64 v[120:121], v[66:67], -v[70:71]
	v_add_f64 v[96:97], v[126:127], v[108:109]
	v_add_f64 v[92:93], v[128:129], v[138:139]
	;; [unrolled: 1-line block ×4, first 2 shown]
	v_add_f64 v[116:117], v[126:127], -v[108:109]
	v_add_f64 v[112:113], v[128:129], -v[138:139]
	v_add_f64 v[118:119], v[130:131], -v[118:119]
	v_add_f64 v[110:111], v[132:133], -v[148:149]
	v_fma_f64 v[126:127], s[10:11], v[120:121], v[124:125]
	v_add_f64 v[128:129], v[78:79], -v[54:55]
	v_add_f64 v[130:131], v[64:65], -v[76:77]
	;; [unrolled: 1-line block ×3, first 2 shown]
	v_fmac_f64_e32 v[124:125], s[8:9], v[120:121]
	v_fmac_f64_e32 v[126:127], s[12:13], v[128:129]
	v_add_f64 v[130:131], v[130:131], v[132:133]
	v_fmac_f64_e32 v[124:125], s[2:3], v[128:129]
	v_fmac_f64_e32 v[126:127], s[6:7], v[130:131]
	;; [unrolled: 1-line block ×3, first 2 shown]
	v_add_f64 v[130:131], v[64:65], v[68:69]
	v_fmac_f64_e32 v[0:1], -0.5, v[130:131]
	v_add_f64 v[88:89], v[134:135], v[140:141]
	v_add_f64 v[108:109], v[134:135], -v[140:141]
	v_fma_f64 v[134:135], s[8:9], v[128:129], v[0:1]
	v_fmac_f64_e32 v[0:1], s[10:11], v[128:129]
	v_fmac_f64_e32 v[134:135], s[12:13], v[120:121]
	;; [unrolled: 1-line block ×3, first 2 shown]
	v_add_f64 v[120:121], v[2:3], v[66:67]
	v_add_f64 v[120:121], v[120:121], v[78:79]
	;; [unrolled: 1-line block ×3, first 2 shown]
	v_add_f64 v[130:131], v[76:77], -v[64:65]
	v_add_f64 v[132:133], v[52:53], -v[68:69]
	v_add_f64 v[128:129], v[120:121], v[70:71]
	v_add_f64 v[120:121], v[78:79], v[54:55]
	;; [unrolled: 1-line block ×3, first 2 shown]
	v_fma_f64 v[120:121], -0.5, v[120:121], v[2:3]
	v_add_f64 v[64:65], v[64:65], -v[68:69]
	v_fmac_f64_e32 v[134:135], s[6:7], v[130:131]
	v_fmac_f64_e32 v[0:1], s[6:7], v[130:131]
	v_fma_f64 v[130:131], s[8:9], v[64:65], v[120:121]
	v_add_f64 v[52:53], v[76:77], -v[52:53]
	v_add_f64 v[68:69], v[66:67], -v[78:79]
	;; [unrolled: 1-line block ×3, first 2 shown]
	v_fmac_f64_e32 v[120:121], s[10:11], v[64:65]
	v_fmac_f64_e32 v[130:131], s[2:3], v[52:53]
	v_add_f64 v[68:69], v[68:69], v[76:77]
	v_fmac_f64_e32 v[120:121], s[12:13], v[52:53]
	v_fmac_f64_e32 v[130:131], s[6:7], v[68:69]
	;; [unrolled: 1-line block ×3, first 2 shown]
	v_add_f64 v[68:69], v[66:67], v[70:71]
	v_fmac_f64_e32 v[2:3], -0.5, v[68:69]
	v_fma_f64 v[132:133], s[10:11], v[52:53], v[2:3]
	v_fmac_f64_e32 v[2:3], s[8:9], v[52:53]
	v_add_f64 v[52:53], v[4:5], v[12:13]
	v_add_f64 v[52:53], v[52:53], v[20:21]
	;; [unrolled: 1-line block ×3, first 2 shown]
	v_fmac_f64_e32 v[132:133], s[2:3], v[64:65]
	v_add_f64 v[66:67], v[78:79], -v[66:67]
	v_add_f64 v[54:55], v[54:55], -v[70:71]
	v_fmac_f64_e32 v[2:3], s[12:13], v[64:65]
	s_waitcnt lgkmcnt(0)
	v_add_f64 v[64:65], v[52:53], v[16:17]
	v_add_f64 v[52:53], v[20:21], v[8:9]
	;; [unrolled: 1-line block ×3, first 2 shown]
	v_fma_f64 v[66:67], -0.5, v[52:53], v[4:5]
	v_add_f64 v[52:53], v[14:15], -v[18:19]
	v_fmac_f64_e32 v[132:133], s[6:7], v[54:55]
	v_fmac_f64_e32 v[2:3], s[6:7], v[54:55]
	v_fma_f64 v[54:55], s[10:11], v[52:53], v[66:67]
	v_add_f64 v[68:69], v[22:23], -v[10:11]
	v_add_f64 v[70:71], v[12:13], -v[20:21]
	;; [unrolled: 1-line block ×3, first 2 shown]
	v_fmac_f64_e32 v[66:67], s[8:9], v[52:53]
	v_fmac_f64_e32 v[54:55], s[12:13], v[68:69]
	v_add_f64 v[70:71], v[70:71], v[76:77]
	v_fmac_f64_e32 v[66:67], s[2:3], v[68:69]
	v_fmac_f64_e32 v[54:55], s[6:7], v[70:71]
	;; [unrolled: 1-line block ×3, first 2 shown]
	v_add_f64 v[70:71], v[12:13], v[16:17]
	v_fmac_f64_e32 v[4:5], -0.5, v[70:71]
	v_fma_f64 v[70:71], s[8:9], v[68:69], v[4:5]
	v_fmac_f64_e32 v[4:5], s[10:11], v[68:69]
	v_fmac_f64_e32 v[70:71], s[12:13], v[52:53]
	;; [unrolled: 1-line block ×3, first 2 shown]
	v_add_f64 v[52:53], v[6:7], v[14:15]
	v_add_f64 v[52:53], v[52:53], v[22:23]
	v_add_f64 v[76:77], v[20:21], -v[12:13]
	v_add_f64 v[78:79], v[8:9], -v[16:17]
	v_add_f64 v[52:53], v[52:53], v[10:11]
	v_add_f64 v[76:77], v[76:77], v[78:79]
	;; [unrolled: 1-line block ×4, first 2 shown]
	v_fma_f64 v[68:69], -0.5, v[52:53], v[6:7]
	v_add_f64 v[12:13], v[12:13], -v[16:17]
	v_fmac_f64_e32 v[70:71], s[6:7], v[76:77]
	v_fmac_f64_e32 v[4:5], s[6:7], v[76:77]
	v_fma_f64 v[76:77], s[8:9], v[12:13], v[68:69]
	v_add_f64 v[8:9], v[20:21], -v[8:9]
	v_add_f64 v[16:17], v[14:15], -v[22:23]
	;; [unrolled: 1-line block ×3, first 2 shown]
	v_fmac_f64_e32 v[68:69], s[10:11], v[12:13]
	v_fmac_f64_e32 v[76:77], s[2:3], v[8:9]
	v_add_f64 v[16:17], v[16:17], v[20:21]
	v_fmac_f64_e32 v[68:69], s[12:13], v[8:9]
	v_fmac_f64_e32 v[76:77], s[6:7], v[16:17]
	;; [unrolled: 1-line block ×3, first 2 shown]
	v_add_f64 v[16:17], v[14:15], v[18:19]
	v_fmac_f64_e32 v[6:7], -0.5, v[16:17]
	v_fma_f64 v[136:137], s[10:11], v[8:9], v[6:7]
	v_add_f64 v[14:15], v[22:23], -v[14:15]
	v_add_f64 v[10:11], v[10:11], -v[18:19]
	v_fmac_f64_e32 v[6:7], s[8:9], v[8:9]
	v_fmac_f64_e32 v[136:137], s[2:3], v[12:13]
	v_add_f64 v[10:11], v[14:15], v[10:11]
	v_fmac_f64_e32 v[6:7], s[12:13], v[12:13]
	v_fmac_f64_e32 v[136:137], s[6:7], v[10:11]
	;; [unrolled: 1-line block ×3, first 2 shown]
	v_mul_f64 v[10:11], v[4:5], s[6:7]
	v_fma_f64 v[142:143], v[6:7], s[10:11], -v[10:11]
	v_mul_f64 v[6:7], v[6:7], s[6:7]
	v_mul_f64 v[148:149], v[70:71], s[8:9]
	v_fma_f64 v[6:7], v[4:5], s[8:9], -v[6:7]
	v_mul_f64 v[4:5], v[68:69], s[14:15]
	v_mul_f64 v[140:141], v[136:137], s[10:11]
	v_fmac_f64_e32 v[148:149], s[6:7], v[136:137]
	v_fma_f64 v[136:137], v[66:67], s[2:3], -v[4:5]
	v_mul_f64 v[138:139], v[54:55], s[14:15]
	v_mul_f64 v[146:147], v[54:55], s[2:3]
	v_add_f64 v[54:55], v[2:3], v[6:7]
	v_add_f64 v[22:23], v[120:121], v[136:137]
	v_add_f64 v[6:7], v[2:3], -v[6:7]
	v_add_f64 v[2:3], v[120:121], -v[136:137]
	v_mul_u32_u24_e32 v120, 10, v198
	v_lshl_add_u32 v120, v120, 4, 0
	s_barrier
	ds_write_b128 v120, v[32:35]
	ds_write_b128 v120, v[28:31] offset:16
	ds_write_b128 v120, v[24:27] offset:32
	;; [unrolled: 1-line block ×9, first 2 shown]
	v_mul_i32_i24_e32 v24, 10, v202
	v_mul_f64 v[10:11], v[66:67], s[14:15]
	v_lshl_add_u32 v25, v24, 4, 0
	v_mul_i32_i24_e32 v24, 10, v218
	v_fma_f64 v[144:145], v[68:69], s[12:13], -v[10:11]
	v_lshl_add_u32 v245, v24, 4, 0
	s_movk_i32 s16, 0xff70
	v_add_f64 v[16:17], v[122:123], v[64:65]
	v_fmac_f64_e32 v[138:139], s[12:13], v[76:77]
	v_fmac_f64_e32 v[140:141], s[6:7], v[70:71]
	v_add_f64 v[20:21], v[124:125], v[144:145]
	v_add_f64 v[18:19], v[128:129], v[78:79]
	v_fmac_f64_e32 v[146:147], s[14:15], v[76:77]
	v_mad_i32_i24 v219, v202, s16, v25
	v_mad_i32_i24 v203, v218, s16, v245
	s_movk_i32 s16, 0xcd
	v_add_f64 v[12:13], v[126:127], v[138:139]
	v_add_f64 v[8:9], v[134:135], v[140:141]
	;; [unrolled: 1-line block ×5, first 2 shown]
	v_add_f64 v[76:77], v[122:123], -v[64:65]
	v_add_f64 v[68:69], v[126:127], -v[138:139]
	;; [unrolled: 1-line block ×8, first 2 shown]
	ds_write_b128 v25, v[96:99]
	ds_write_b128 v25, v[92:95] offset:16
	ds_write_b128 v25, v[88:91] offset:32
	;; [unrolled: 1-line block ×9, first 2 shown]
	ds_write_b128 v245, v[16:19]
	ds_write_b128 v245, v[12:15] offset:16
	ds_write_b128 v245, v[8:11] offset:32
	;; [unrolled: 1-line block ×9, first 2 shown]
	v_mul_lo_u16_sdwa v20, v198, s16 dst_sel:DWORD dst_unused:UNUSED_PAD src0_sel:BYTE_0 src1_sel:DWORD
	v_lshrrev_b16_e32 v161, 11, v20
	v_mul_lo_u16_e32 v20, 10, v161
	v_sub_u16_e32 v162, v198, v20
	v_mov_b32_e32 v20, 5
	v_lshl_add_u32 v1, v200, 4, 0
	v_lshl_add_u32 v0, v152, 4, 0
	v_lshlrev_b32_sdwa v21, v20, v162 dst_sel:DWORD dst_unused:UNUSED_PAD src0_sel:DWORD src1_sel:BYTE_0
	s_waitcnt lgkmcnt(0)
	s_barrier
	ds_read_b128 v[72:75], v244 offset:16000
	ds_read_b128 v[60:63], v244 offset:17600
	ds_read_b128 v[16:19], v219
	ds_read_b128 v[12:15], v203
	ds_read_b128 v[64:67], v244 offset:33600
	ds_read_b128 v[44:47], v244 offset:35200
	v_lshl_add_u32 v213, v216, 4, 0
	ds_read_b128 v[76:79], v244 offset:32000
	ds_read_b128 v[8:11], v213
	ds_read_b128 v[68:71], v244 offset:19200
	ds_read_b128 v[52:55], v244 offset:20800
	ds_read_b128 v[48:51], v244 offset:36800
	ds_read_b128 v[36:39], v244 offset:38400
	v_accvgpr_write_b32 a9, v1
	ds_read_b128 v[4:7], v1
	v_accvgpr_write_b32 a7, v0
	ds_read_b128 v[0:3], v0
	ds_read_b128 v[56:59], v244 offset:22400
	ds_read_b128 v[40:43], v244 offset:24000
	global_load_dwordx4 v[88:91], v21, s[4:5] offset:16
	global_load_dwordx4 v[92:95], v21, s[4:5]
	v_mul_lo_u16_sdwa v21, v202, s16 dst_sel:DWORD dst_unused:UNUSED_PAD src0_sel:BYTE_0 src1_sel:DWORD
	v_lshrrev_b16_e32 v155, 11, v21
	v_mul_lo_u16_e32 v21, 10, v155
	v_sub_u16_e32 v156, v202, v21
	v_lshlrev_b32_sdwa v20, v20, v156 dst_sel:DWORD dst_unused:UNUSED_PAD src0_sel:DWORD src1_sel:BYTE_0
	s_mov_b32 s16, 0xcccd
	ds_read_b128 v[84:87], v244 offset:40000
	ds_read_b128 v[80:83], v244 offset:41600
	global_load_dwordx4 v[96:99], v20, s[4:5] offset:16
	global_load_dwordx4 v[100:103], v20, s[4:5]
	v_mul_u32_u24_sdwa v20, v217, s16 dst_sel:DWORD dst_unused:UNUSED_PAD src0_sel:WORD_0 src1_sel:DWORD
	v_lshrrev_b32_e32 v145, 19, v20
	v_mul_lo_u16_e32 v20, 10, v145
	v_sub_u16_e32 v144, v217, v20
	v_lshlrev_b32_e32 v20, 5, v144
	global_load_dwordx4 v[104:107], v20, s[4:5] offset:16
	global_load_dwordx4 v[108:111], v20, s[4:5]
	v_mul_u32_u24_sdwa v20, v216, s16 dst_sel:DWORD dst_unused:UNUSED_PAD src0_sel:WORD_0 src1_sel:DWORD
	v_mul_u32_u24_sdwa v28, v200, s16 dst_sel:DWORD dst_unused:UNUSED_PAD src0_sel:WORD_0 src1_sel:DWORD
	v_accvgpr_write_b32 a6, v150
	v_lshl_add_u32 v22, v150, 4, 0
	v_lshrrev_b32_e32 v150, 19, v20
	v_lshrrev_b32_e32 v148, 19, v28
	v_mul_lo_u16_e32 v20, 10, v150
	v_mul_lo_u16_e32 v28, 10, v148
	v_sub_u16_e32 v146, v216, v20
	v_sub_u16_e32 v147, v200, v28
	v_lshl_add_u32 v212, v254, 4, 0
	v_lshlrev_b32_e32 v20, 5, v146
	v_lshlrev_b32_e32 v28, 5, v147
	v_accvgpr_write_b32 a11, v25
	global_load_dwordx4 v[112:115], v20, s[4:5] offset:16
	global_load_dwordx4 v[116:119], v20, s[4:5]
	ds_read_b128 v[24:27], v212
	v_accvgpr_write_b32 a10, v22
	ds_read_b128 v[20:23], v22
	global_load_dwordx4 v[120:123], v28, s[4:5] offset:16
	global_load_dwordx4 v[124:127], v28, s[4:5]
	v_mul_u32_u24_sdwa v28, v201, s16 dst_sel:DWORD dst_unused:UNUSED_PAD src0_sel:WORD_0 src1_sel:DWORD
	v_lshrrev_b32_e32 v153, 19, v28
	v_mul_lo_u16_e32 v28, 10, v153
	v_sub_u16_e32 v149, v201, v28
	v_lshlrev_b32_e32 v28, 5, v149
	global_load_dwordx4 v[132:135], v28, s[4:5] offset:16
	global_load_dwordx4 v[140:143], v28, s[4:5]
	v_mul_u32_u24_sdwa v28, v254, s16 dst_sel:DWORD dst_unused:UNUSED_PAD src0_sel:WORD_0 src1_sel:DWORD
	v_accvgpr_write_b32 a8, v152
	v_lshrrev_b32_e32 v152, 19, v28
	v_mul_lo_u16_e32 v28, 10, v152
	v_sub_u16_e32 v151, v254, v28
	v_lshlrev_b32_e32 v28, 5, v151
	ds_read_b128 v[136:139], v244 offset:25600
	ds_read_b128 v[128:131], v244 offset:27200
	global_load_dwordx4 v[164:167], v28, s[4:5] offset:16
	global_load_dwordx4 v[168:171], v28, s[4:5]
	v_mul_u32_u24_sdwa v28, v255, s16 dst_sel:DWORD dst_unused:UNUSED_PAD src0_sel:WORD_0 src1_sel:DWORD
	v_lshrrev_b32_e32 v163, 19, v28
	v_mul_lo_u16_e32 v28, 10, v163
	v_sub_u16_e32 v154, v255, v28
	v_lshlrev_b32_e32 v28, 5, v154
	global_load_dwordx4 v[172:175], v28, s[4:5] offset:16
	global_load_dwordx4 v[176:179], v28, s[4:5]
	v_mul_u32_u24_sdwa v28, v158, s16 dst_sel:DWORD dst_unused:UNUSED_PAD src0_sel:WORD_0 src1_sel:DWORD
	v_lshrrev_b32_e32 v157, 19, v28
	v_mul_lo_u16_e32 v28, 10, v157
	v_lshl_add_u32 v29, v158, 4, 0
	v_accvgpr_write_b32 a4, v158
	v_sub_u16_e32 v158, v158, v28
	v_lshlrev_b32_e32 v28, 5, v158
	global_load_dwordx4 v[180:183], v28, s[4:5] offset:16
	global_load_dwordx4 v[184:187], v28, s[4:5]
	v_mul_u32_u24_sdwa v28, v196, s16 dst_sel:DWORD dst_unused:UNUSED_PAD src0_sel:WORD_0 src1_sel:DWORD
	v_lshrrev_b32_e32 v159, 19, v28
	v_mul_lo_u16_e32 v28, 10, v159
	v_sub_u16_e32 v160, v196, v28
	v_lshlrev_b32_e32 v28, 5, v160
	ds_read_b128 v[188:191], v244 offset:43200
	ds_read_b128 v[192:195], v244 offset:44800
	global_load_dwordx4 v[220:223], v28, s[4:5] offset:16
	global_load_dwordx4 v[224:227], v28, s[4:5]
	v_accvgpr_write_b32 a2, v196
	v_lshl_add_u32 v214, v196, 4, 0
	v_accvgpr_write_b32 a12, v29
	ds_read_b128 v[32:35], v29
	ds_read_b128 v[28:31], v214
	ds_read_b128 v[228:231], v244 offset:28800
	ds_read_b128 v[232:235], v244 offset:30400
	s_mov_b32 s16, 0xe8584caa
	s_mov_b32 s17, 0x3febb67a
	;; [unrolled: 1-line block ×4, first 2 shown]
	s_movk_i32 s20, 0x1000
	v_accvgpr_write_b32 a5, v212
	v_mov_b32_e32 v255, v213
	s_waitcnt vmcnt(18) lgkmcnt(14)
	v_mul_f64 v[196:197], v[74:75], v[94:95]
	v_fma_f64 v[196:197], v[72:73], v[92:93], -v[196:197]
	v_mul_f64 v[94:95], v[72:73], v[94:95]
	v_mul_f64 v[72:73], v[78:79], v[90:91]
	;; [unrolled: 1-line block ×3, first 2 shown]
	v_fmac_f64_e32 v[94:95], v[74:75], v[92:93]
	v_fma_f64 v[92:93], v[76:77], v[88:89], -v[72:73]
	v_fmac_f64_e32 v[90:91], v[78:79], v[88:89]
	s_waitcnt vmcnt(16)
	v_mul_f64 v[88:89], v[62:63], v[102:103]
	v_fma_f64 v[88:89], v[60:61], v[100:101], -v[88:89]
	v_mul_f64 v[60:61], v[60:61], v[102:103]
	v_fmac_f64_e32 v[60:61], v[62:63], v[100:101]
	v_mul_f64 v[62:63], v[66:67], v[98:99]
	v_fma_f64 v[62:63], v[64:65], v[96:97], -v[62:63]
	v_mul_f64 v[64:65], v[64:65], v[98:99]
	v_fmac_f64_e32 v[64:65], v[66:67], v[96:97]
	s_waitcnt vmcnt(14)
	v_mul_f64 v[66:67], v[70:71], v[110:111]
	v_fma_f64 v[66:67], v[68:69], v[108:109], -v[66:67]
	v_mul_f64 v[68:69], v[68:69], v[110:111]
	v_fmac_f64_e32 v[68:69], v[70:71], v[108:109]
	v_mul_f64 v[70:71], v[46:47], v[106:107]
	v_fma_f64 v[70:71], v[44:45], v[104:105], -v[70:71]
	v_mul_f64 v[98:99], v[44:45], v[106:107]
	ds_read_b128 v[76:79], v244
	ds_read_b128 v[72:75], v244 offset:46400
	v_fmac_f64_e32 v[98:99], v[46:47], v[104:105]
	s_waitcnt lgkmcnt(0)
	s_barrier
	s_waitcnt vmcnt(13)
	v_mul_f64 v[208:209], v[48:49], v[114:115]
	s_waitcnt vmcnt(12)
	v_mul_f64 v[44:45], v[54:55], v[118:119]
	v_fma_f64 v[204:205], v[52:53], v[116:117], -v[44:45]
	v_mul_f64 v[44:45], v[50:51], v[114:115]
	v_fma_f64 v[206:207], v[48:49], v[112:113], -v[44:45]
	s_waitcnt vmcnt(10)
	v_mul_f64 v[44:45], v[58:59], v[126:127]
	v_fma_f64 v[210:211], v[56:57], v[124:125], -v[44:45]
	v_mul_f64 v[56:57], v[56:57], v[126:127]
	v_mul_f64 v[44:45], v[38:39], v[122:123]
	v_fmac_f64_e32 v[56:57], v[58:59], v[124:125]
	v_fma_f64 v[58:59], v[36:37], v[120:121], -v[44:45]
	v_mul_f64 v[122:123], v[36:37], v[122:123]
	s_waitcnt vmcnt(8)
	v_mul_f64 v[36:37], v[42:43], v[142:143]
	v_fmac_f64_e32 v[122:123], v[38:39], v[120:121]
	v_fma_f64 v[120:121], v[40:41], v[140:141], -v[36:37]
	v_mul_f64 v[36:37], v[86:87], v[134:135]
	v_fma_f64 v[126:127], v[84:85], v[132:133], -v[36:37]
	v_mul_f64 v[134:135], v[84:85], v[134:135]
	v_fmac_f64_e32 v[208:209], v[50:51], v[112:113]
	s_waitcnt vmcnt(6)
	v_mul_f64 v[36:37], v[138:139], v[170:171]
	v_fmac_f64_e32 v[134:135], v[86:87], v[132:133]
	v_fma_f64 v[50:51], v[136:137], v[168:169], -v[36:37]
	v_mul_f64 v[132:133], v[136:137], v[170:171]
	v_mul_f64 v[36:37], v[82:83], v[166:167]
	;; [unrolled: 1-line block ×3, first 2 shown]
	v_fmac_f64_e32 v[132:133], v[138:139], v[168:169]
	v_fma_f64 v[136:137], v[80:81], v[164:165], -v[36:37]
	v_mul_f64 v[138:139], v[80:81], v[166:167]
	s_waitcnt vmcnt(4)
	v_mul_f64 v[36:37], v[130:131], v[178:179]
	v_fmac_f64_e32 v[124:125], v[42:43], v[140:141]
	v_fma_f64 v[42:43], v[128:129], v[176:177], -v[36:37]
	v_mul_f64 v[44:45], v[128:129], v[178:179]
	v_mul_f64 v[52:53], v[52:53], v[118:119]
	v_fmac_f64_e32 v[52:53], v[54:55], v[116:117]
	v_fmac_f64_e32 v[138:139], v[82:83], v[164:165]
	v_mul_f64 v[36:37], v[190:191], v[174:175]
	v_fma_f64 v[48:49], v[188:189], v[172:173], -v[36:37]
	v_mul_f64 v[54:55], v[188:189], v[174:175]
	v_fmac_f64_e32 v[44:45], v[130:131], v[176:177]
	s_waitcnt vmcnt(1)
	v_mul_f64 v[142:143], v[72:73], v[222:223]
	s_waitcnt vmcnt(0)
	v_mul_f64 v[80:81], v[234:235], v[226:227]
	v_fma_f64 v[128:129], v[232:233], v[224:225], -v[80:81]
	v_mul_f64 v[80:81], v[74:75], v[222:223]
	v_fma_f64 v[140:141], v[72:73], v[220:221], -v[80:81]
	v_add_f64 v[72:73], v[76:77], v[196:197]
	v_add_f64 v[116:117], v[72:73], v[92:93]
	v_add_f64 v[72:73], v[196:197], v[92:93]
	v_fmac_f64_e32 v[76:77], -0.5, v[72:73]
	v_add_f64 v[72:73], v[94:95], -v[90:91]
	v_fma_f64 v[108:109], s[16:17], v[72:73], v[76:77]
	v_fmac_f64_e32 v[76:77], s[18:19], v[72:73]
	v_add_f64 v[72:73], v[78:79], v[94:95]
	v_add_f64 v[118:119], v[72:73], v[90:91]
	v_add_f64 v[72:73], v[94:95], v[90:91]
	v_fmac_f64_e32 v[78:79], -0.5, v[72:73]
	v_add_f64 v[72:73], v[196:197], -v[92:93]
	v_fma_f64 v[110:111], s[18:19], v[72:73], v[78:79]
	v_fmac_f64_e32 v[78:79], s[16:17], v[72:73]
	;; [unrolled: 7-line block ×3, first 2 shown]
	v_add_f64 v[72:73], v[18:19], v[60:61]
	v_add_f64 v[60:61], v[60:61], v[64:65]
	v_fmac_f64_e32 v[18:19], -0.5, v[60:61]
	v_add_f64 v[60:61], v[88:89], -v[62:63]
	v_fma_f64 v[106:107], s[18:19], v[60:61], v[18:19]
	v_fmac_f64_e32 v[18:19], s[16:17], v[60:61]
	v_add_f64 v[60:61], v[12:13], v[66:67]
	v_add_f64 v[100:101], v[60:61], v[70:71]
	v_add_f64 v[60:61], v[66:67], v[70:71]
	v_fmac_f64_e32 v[12:13], -0.5, v[60:61]
	v_add_f64 v[60:61], v[68:69], -v[98:99]
	v_fma_f64 v[96:97], s[16:17], v[60:61], v[12:13]
	v_fmac_f64_e32 v[12:13], s[18:19], v[60:61]
	v_add_f64 v[60:61], v[14:15], v[68:69]
	;; [unrolled: 7-line block ×4, first 2 shown]
	v_add_f64 v[52:53], v[52:53], v[208:209]
	v_fmac_f64_e32 v[10:11], -0.5, v[52:53]
	v_add_f64 v[52:53], v[204:205], -v[206:207]
	v_fma_f64 v[90:91], s[18:19], v[52:53], v[10:11]
	v_fmac_f64_e32 v[10:11], s[16:17], v[52:53]
	v_add_f64 v[52:53], v[4:5], v[210:211]
	v_add_f64 v[84:85], v[52:53], v[58:59]
	v_add_f64 v[52:53], v[210:211], v[58:59]
	v_fmac_f64_e32 v[4:5], -0.5, v[52:53]
	v_add_f64 v[52:53], v[56:57], -v[122:123]
	v_fma_f64 v[80:81], s[16:17], v[52:53], v[4:5]
	v_fmac_f64_e32 v[4:5], s[18:19], v[52:53]
	v_add_f64 v[52:53], v[6:7], v[56:57]
	v_add_f64 v[86:87], v[52:53], v[122:123]
	;; [unrolled: 7-line block ×3, first 2 shown]
	v_add_f64 v[72:73], v[52:53], v[126:127]
	v_add_f64 v[52:53], v[120:121], v[126:127]
	v_fmac_f64_e32 v[0:1], -0.5, v[52:53]
	v_add_f64 v[52:53], v[124:125], -v[134:135]
	v_fma_f64 v[68:69], s[16:17], v[52:53], v[0:1]
	v_fmac_f64_e32 v[0:1], s[18:19], v[52:53]
	v_add_f64 v[52:53], v[2:3], v[124:125]
	v_fmac_f64_e32 v[142:143], v[74:75], v[220:221]
	v_add_f64 v[74:75], v[52:53], v[134:135]
	v_add_f64 v[52:53], v[124:125], v[134:135]
	v_fmac_f64_e32 v[2:3], -0.5, v[52:53]
	v_add_f64 v[52:53], v[120:121], -v[126:127]
	v_fma_f64 v[70:71], s[18:19], v[52:53], v[2:3]
	v_fmac_f64_e32 v[2:3], s[16:17], v[52:53]
	v_add_f64 v[52:53], v[24:25], v[50:51]
	v_add_f64 v[64:65], v[52:53], v[136:137]
	;; [unrolled: 1-line block ×3, first 2 shown]
	v_fmac_f64_e32 v[24:25], -0.5, v[52:53]
	v_add_f64 v[52:53], v[132:133], -v[138:139]
	v_add_f64 v[94:95], v[60:61], v[208:209]
	v_fma_f64 v[60:61], s[16:17], v[52:53], v[24:25]
	v_fmac_f64_e32 v[24:25], s[18:19], v[52:53]
	v_add_f64 v[52:53], v[26:27], v[132:133]
	v_add_f64 v[66:67], v[52:53], v[138:139]
	;; [unrolled: 1-line block ×3, first 2 shown]
	v_fmac_f64_e32 v[26:27], -0.5, v[52:53]
	v_add_f64 v[50:51], v[50:51], -v[136:137]
	v_fma_f64 v[62:63], s[18:19], v[50:51], v[26:27]
	v_fmac_f64_e32 v[26:27], s[16:17], v[50:51]
	v_add_f64 v[50:51], v[20:21], v[42:43]
	v_fmac_f64_e32 v[54:55], v[190:191], v[172:173]
	v_add_f64 v[56:57], v[50:51], v[48:49]
	v_add_f64 v[50:51], v[42:43], v[48:49]
	v_fmac_f64_e32 v[20:21], -0.5, v[50:51]
	v_add_f64 v[50:51], v[44:45], -v[54:55]
	v_mul_f64 v[36:37], v[230:231], v[186:187]
	v_fma_f64 v[52:53], s[16:17], v[50:51], v[20:21]
	v_fmac_f64_e32 v[20:21], s[18:19], v[50:51]
	v_add_f64 v[50:51], v[22:23], v[44:45]
	v_add_f64 v[44:45], v[44:45], v[54:55]
	v_fma_f64 v[36:37], v[228:229], v[184:185], -v[36:37]
	v_mul_f64 v[40:41], v[194:195], v[182:183]
	v_fmac_f64_e32 v[22:23], -0.5, v[44:45]
	v_add_f64 v[42:43], v[42:43], -v[48:49]
	v_mul_f64 v[38:39], v[228:229], v[186:187]
	v_fma_f64 v[40:41], v[192:193], v[180:181], -v[40:41]
	v_mul_f64 v[46:47], v[192:193], v[182:183]
	v_add_f64 v[58:59], v[50:51], v[54:55]
	v_fma_f64 v[54:55], s[18:19], v[42:43], v[22:23]
	v_fmac_f64_e32 v[22:23], s[16:17], v[42:43]
	v_add_f64 v[42:43], v[32:33], v[36:37]
	v_fmac_f64_e32 v[38:39], v[230:231], v[184:185]
	v_fmac_f64_e32 v[46:47], v[194:195], v[180:181]
	v_add_f64 v[48:49], v[42:43], v[40:41]
	v_add_f64 v[42:43], v[36:37], v[40:41]
	v_fmac_f64_e32 v[32:33], -0.5, v[42:43]
	v_add_f64 v[42:43], v[38:39], -v[46:47]
	v_fma_f64 v[44:45], s[16:17], v[42:43], v[32:33]
	v_fmac_f64_e32 v[32:33], s[18:19], v[42:43]
	v_add_f64 v[42:43], v[34:35], v[38:39]
	v_add_f64 v[38:39], v[38:39], v[46:47]
	v_fmac_f64_e32 v[34:35], -0.5, v[38:39]
	v_add_f64 v[36:37], v[36:37], -v[40:41]
	v_mul_f64 v[130:131], v[232:233], v[226:227]
	v_add_f64 v[50:51], v[42:43], v[46:47]
	v_fma_f64 v[46:47], s[18:19], v[36:37], v[34:35]
	v_fmac_f64_e32 v[34:35], s[16:17], v[36:37]
	v_add_f64 v[36:37], v[28:29], v[128:129]
	v_fmac_f64_e32 v[130:131], v[234:235], v[224:225]
	v_add_f64 v[40:41], v[36:37], v[140:141]
	v_add_f64 v[36:37], v[128:129], v[140:141]
	v_fmac_f64_e32 v[28:29], -0.5, v[36:37]
	v_add_f64 v[38:39], v[130:131], -v[142:143]
	v_fma_f64 v[36:37], s[16:17], v[38:39], v[28:29]
	v_fmac_f64_e32 v[28:29], s[18:19], v[38:39]
	v_add_f64 v[38:39], v[30:31], v[130:131]
	v_add_f64 v[42:43], v[38:39], v[142:143]
	;; [unrolled: 1-line block ×3, first 2 shown]
	v_fmac_f64_e32 v[30:31], -0.5, v[38:39]
	v_add_f64 v[120:121], v[128:129], -v[140:141]
	v_mov_b32_e32 v207, 4
	v_fma_f64 v[38:39], s[18:19], v[120:121], v[30:31]
	v_fmac_f64_e32 v[30:31], s[16:17], v[120:121]
	v_mul_u32_u24_e32 v120, 0x1e0, v161
	v_lshlrev_b32_sdwa v121, v207, v162 dst_sel:DWORD dst_unused:UNUSED_PAD src0_sel:DWORD src1_sel:BYTE_0
	v_add3_u32 v120, 0, v120, v121
	ds_write_b128 v120, v[116:119]
	ds_write_b128 v120, v[108:111] offset:160
	ds_write_b128 v120, v[76:79] offset:320
	v_mul_u32_u24_e32 v76, 0x1e0, v155
	v_lshlrev_b32_sdwa v77, v207, v156 dst_sel:DWORD dst_unused:UNUSED_PAD src0_sel:DWORD src1_sel:BYTE_0
	v_add3_u32 v76, 0, v76, v77
	s_mov_b32 s17, 0x5040100
	s_movk_i32 s16, 0x1e0
	ds_write_b128 v76, v[112:115]
	ds_write_b128 v76, v[104:107] offset:160
	ds_write_b128 v76, v[16:19] offset:320
	v_perm_b32 v16, v145, v150, s17
	v_pk_mul_lo_u16 v16, v16, s16 op_sel_hi:[1,0]
	v_lshlrev_b32_e32 v18, 4, v144
	v_lshrrev_b32_e32 v17, 16, v16
	v_add3_u32 v17, 0, v17, v18
	ds_write_b128 v17, v[100:103]
	ds_write_b128 v17, v[96:99] offset:160
	ds_write_b128 v17, v[12:15] offset:320
	v_and_b32_e32 v12, 0xffe0, v16
	v_lshlrev_b32_e32 v13, 4, v146
	v_add3_u32 v12, 0, v12, v13
	ds_write_b128 v12, v[92:95]
	ds_write_b128 v12, v[88:91] offset:160
	ds_write_b128 v12, v[8:11] offset:320
	v_perm_b32 v8, v153, v148, s17
	v_pk_mul_lo_u16 v8, v8, s16 op_sel_hi:[1,0]
	v_lshlrev_b32_e32 v10, 4, v147
	v_and_b32_e32 v9, 0xffe0, v8
	v_add3_u32 v9, 0, v9, v10
	ds_write_b128 v9, v[84:87]
	ds_write_b128 v9, v[80:83] offset:160
	ds_write_b128 v9, v[4:7] offset:320
	v_lshrrev_b32_e32 v4, 16, v8
	v_lshlrev_b32_e32 v5, 4, v149
	v_add3_u32 v4, 0, v4, v5
	ds_write_b128 v4, v[72:75]
	ds_write_b128 v4, v[68:71] offset:160
	ds_write_b128 v4, v[0:3] offset:320
	v_perm_b32 v0, v163, v152, s17
	v_pk_mul_lo_u16 v0, v0, s16 op_sel_hi:[1,0]
	v_lshlrev_b32_e32 v2, 4, v151
	v_and_b32_e32 v1, 0xffe0, v0
	v_add3_u32 v1, 0, v1, v2
	ds_write_b128 v1, v[64:67]
	ds_write_b128 v1, v[60:63] offset:160
	ds_write_b128 v1, v[24:27] offset:320
	v_lshrrev_b32_e32 v0, 16, v0
	v_lshlrev_b32_e32 v1, 4, v154
	v_add3_u32 v0, 0, v0, v1
	ds_write_b128 v0, v[56:59]
	ds_write_b128 v0, v[52:55] offset:160
	ds_write_b128 v0, v[20:23] offset:320
	v_mul_u32_u24_e32 v0, 0x1e0, v157
	v_lshlrev_b32_e32 v1, 4, v158
	v_add3_u32 v0, 0, v0, v1
	ds_write_b128 v0, v[48:51]
	ds_write_b128 v0, v[44:47] offset:160
	ds_write_b128 v0, v[32:35] offset:320
	v_mul_u32_u24_e32 v0, 0x1e0, v159
	v_lshlrev_b32_e32 v1, 4, v160
	v_add3_u32 v0, 0, v0, v1
	s_movk_i32 s16, 0x89
	ds_write_b128 v0, v[40:43]
	ds_write_b128 v0, v[36:39] offset:160
	ds_write_b128 v0, v[28:31] offset:320
	v_mul_lo_u16_sdwa v0, v198, s16 dst_sel:DWORD dst_unused:UNUSED_PAD src0_sel:BYTE_0 src1_sel:DWORD
	v_lshrrev_b16_e32 v211, 12, v0
	v_mul_lo_u16_e32 v0, 30, v211
	v_sub_u16_e32 v201, v198, v0
	v_mov_b32_e32 v0, 9
	v_mul_u32_u24_sdwa v1, v201, v0 dst_sel:DWORD dst_unused:UNUSED_PAD src0_sel:BYTE_0 src1_sel:DWORD
	v_lshlrev_b32_e32 v1, 4, v1
	s_waitcnt lgkmcnt(0)
	s_barrier
	global_load_dwordx4 v[124:127], v1, s[4:5] offset:320
	global_load_dwordx4 v[120:123], v1, s[4:5] offset:336
	;; [unrolled: 1-line block ×6, first 2 shown]
	v_mul_lo_u16_sdwa v2, v202, s16 dst_sel:DWORD dst_unused:UNUSED_PAD src0_sel:BYTE_0 src1_sel:DWORD
	ds_read_b128 v[164:167], v212
	ds_read_b128 v[160:163], v214
	ds_read_b128 v[80:83], v244 offset:19200
	ds_read_b128 v[20:23], v244 offset:20800
	;; [unrolled: 1-line block ×4, first 2 shown]
	global_load_dwordx4 v[28:31], v1, s[4:5] offset:432
	global_load_dwordx4 v[32:35], v1, s[4:5] offset:416
	v_lshrrev_b16_e32 v199, 12, v2
	v_mul_lo_u16_e32 v2, 30, v199
	v_sub_u16_e32 v204, v202, v2
	ds_read_b128 v[36:39], v244 offset:33600
	ds_read_b128 v[16:19], v244 offset:35200
	;; [unrolled: 1-line block ×4, first 2 shown]
	global_load_dwordx4 v[68:71], v1, s[4:5] offset:448
	v_mul_u32_u24_sdwa v0, v204, v0 dst_sel:DWORD dst_unused:UNUSED_PAD src0_sel:BYTE_0 src1_sel:DWORD
	v_lshlrev_b32_e32 v176, 4, v0
	global_load_dwordx4 v[96:99], v176, s[4:5] offset:320
	ds_read_b128 v[4:7], v219
	ds_read_b128 v[0:3], v203
	global_load_dwordx4 v[84:87], v176, s[4:5] offset:352
	global_load_dwordx4 v[92:95], v176, s[4:5] offset:336
	s_mov_b32 s16, 0x8889
	ds_read_b128 v[112:115], v244 offset:6400
	ds_read_b128 v[60:63], v244 offset:8000
	;; [unrolled: 1-line block ×8, first 2 shown]
	global_load_dwordx4 v[104:107], v176, s[4:5] offset:368
	ds_read_b128 v[88:91], v244 offset:25600
	ds_read_b128 v[44:47], v244 offset:27200
	global_load_dwordx4 v[156:159], v176, s[4:5] offset:384
	ds_read_b128 v[190:193], v213
	ds_read_b128 v[132:135], v244 offset:32000
	v_mul_u32_u24_sdwa v180, v217, s16 dst_sel:DWORD dst_unused:UNUSED_PAD src0_sel:WORD_0 src1_sel:DWORD
	v_lshrrev_b32_e32 v205, 20, v180
	global_load_dwordx4 v[144:147], v176, s[4:5] offset:416
	global_load_dwordx4 v[152:155], v176, s[4:5] offset:400
	v_mul_lo_u16_e32 v180, 30, v205
	v_sub_u16_e32 v215, v217, v180
	v_mul_u32_u24_e32 v180, 9, v215
	ds_read_b128 v[172:175], v244 offset:38400
	ds_read_b128 v[136:139], v244 offset:36800
	;; [unrolled: 1-line block ×4, first 2 shown]
	v_lshlrev_b32_e32 v206, 4, v180
	s_mov_b64 s[18:19], 0x1220
	s_mov_b64 s[16:17], 0x1260
	v_accvgpr_write_b32 a13, v214
	s_waitcnt vmcnt(15) lgkmcnt(5)
	v_mul_f64 v[148:149], v[192:193], v[126:127]
	v_fma_f64 v[188:189], v[190:191], v[124:125], -v[148:149]
	global_load_dwordx4 v[148:151], v176, s[4:5] offset:432
	s_nop 0
	global_load_dwordx4 v[176:179], v176, s[4:5] offset:448
	s_nop 0
	global_load_dwordx4 v[180:183], v206, s[4:5] offset:336
	global_load_dwordx4 v[184:187], v206, s[4:5] offset:320
	v_mul_f64 v[190:191], v[190:191], v[126:127]
	v_fmac_f64_e32 v[190:191], v[192:193], v[124:125]
	s_waitcnt vmcnt(18)
	v_mul_f64 v[124:125], v[166:167], v[122:123]
	v_mul_f64 v[196:197], v[164:165], v[122:123]
	v_fma_f64 v[222:223], v[164:165], v[120:121], -v[124:125]
	v_fmac_f64_e32 v[196:197], v[166:167], v[120:121]
	global_load_dwordx4 v[120:123], v206, s[4:5] offset:368
	global_load_dwordx4 v[124:127], v206, s[4:5] offset:352
	s_waitcnt vmcnt(19)
	v_mul_f64 v[164:165], v[162:163], v[118:119]
	v_mul_f64 v[192:193], v[160:161], v[118:119]
	v_fma_f64 v[194:195], v[160:161], v[116:117], -v[164:165]
	v_fmac_f64_e32 v[192:193], v[162:163], v[116:117]
	s_waitcnt vmcnt(18)
	v_mul_f64 v[116:117], v[82:83], v[42:43]
	v_fma_f64 v[224:225], v[80:81], v[40:41], -v[116:117]
	global_load_dwordx4 v[116:119], v206, s[4:5] offset:400
	global_load_dwordx4 v[236:239], v206, s[4:5] offset:384
	v_mul_f64 v[226:227], v[80:81], v[42:43]
	global_load_dwordx4 v[240:243], v206, s[4:5] offset:432
	global_load_dwordx4 v[250:253], v206, s[4:5] offset:416
	v_fmac_f64_e32 v[226:227], v[82:83], v[40:41]
	s_waitcnt vmcnt(21)
	v_mul_f64 v[40:41], v[170:171], v[78:79]
	v_fma_f64 v[220:221], v[168:169], v[76:77], -v[40:41]
	ds_read_b128 v[40:43], v244
	ds_read_b128 v[232:235], v244 offset:46400
	global_load_dwordx4 v[246:249], v206, s[4:5] offset:448
	v_mul_f64 v[168:169], v[168:169], v[78:79]
	v_fmac_f64_e32 v[168:169], v[170:171], v[76:77]
	s_waitcnt vmcnt(21)
	v_mul_f64 v[76:77], v[74:75], v[66:67]
	v_mul_f64 v[228:229], v[72:73], v[66:67]
	v_fma_f64 v[230:231], v[72:73], v[64:65], -v[76:77]
	v_fmac_f64_e32 v[228:229], v[74:75], v[64:65]
	s_waitcnt vmcnt(19)
	v_mul_f64 v[64:65], v[38:39], v[34:35]
	v_mul_f64 v[34:35], v[36:37], v[34:35]
	v_fma_f64 v[170:171], v[36:37], v[32:33], -v[64:65]
	v_fmac_f64_e32 v[34:35], v[38:39], v[32:33]
	s_waitcnt lgkmcnt(5)
	v_mul_f64 v[32:33], v[174:175], v[30:31]
	v_fma_f64 v[208:209], v[172:173], v[28:29], -v[32:33]
	v_mul_f64 v[172:173], v[172:173], v[30:31]
	v_fmac_f64_e32 v[172:173], v[174:175], v[28:29]
	s_waitcnt vmcnt(18)
	v_mul_f64 v[28:29], v[26:27], v[70:71]
	v_fma_f64 v[36:37], v[24:25], v[68:69], -v[28:29]
	v_mul_f64 v[24:25], v[24:25], v[70:71]
	v_fmac_f64_e32 v[24:25], v[26:27], v[68:69]
	s_waitcnt vmcnt(17)
	v_mul_f64 v[26:27], v[114:115], v[98:99]
	v_fma_f64 v[66:67], v[112:113], v[96:97], -v[26:27]
	s_waitcnt vmcnt(15)
	v_mul_f64 v[26:27], v[110:111], v[94:95]
	v_fma_f64 v[164:165], v[108:109], v[92:93], -v[26:27]
	v_mul_f64 v[26:27], v[102:103], v[86:87]
	v_fma_f64 v[76:77], v[100:101], v[84:85], -v[26:27]
	s_waitcnt vmcnt(14)
	v_mul_f64 v[26:27], v[22:23], v[106:107]
	v_fma_f64 v[166:167], v[20:21], v[104:105], -v[26:27]
	v_mul_f64 v[162:163], v[20:21], v[106:107]
	s_waitcnt vmcnt(13)
	v_mul_f64 v[20:21], v[90:91], v[158:159]
	v_fma_f64 v[78:79], v[88:89], v[156:157], -v[20:21]
	v_mul_f64 v[70:71], v[88:89], v[158:159]
	s_waitcnt vmcnt(11)
	v_mul_f64 v[20:21], v[14:15], v[154:155]
	v_fmac_f64_e32 v[70:71], v[90:91], v[156:157]
	v_fma_f64 v[156:157], v[12:13], v[152:153], -v[20:21]
	v_mul_f64 v[154:155], v[12:13], v[154:155]
	v_mul_f64 v[12:13], v[18:19], v[146:147]
	v_fma_f64 v[80:81], v[16:17], v[144:145], -v[12:13]
	v_mul_f64 v[72:73], v[16:17], v[146:147]
	v_fmac_f64_e32 v[72:73], v[18:19], v[144:145]
	v_mul_f64 v[68:69], v[112:113], v[98:99]
	v_fmac_f64_e32 v[68:69], v[114:115], v[96:97]
	;; [unrolled: 2-line block ×4, first 2 shown]
	v_add_f64 v[14:15], v[208:209], -v[230:231]
	v_fmac_f64_e32 v[64:65], v[102:103], v[84:85]
	v_fmac_f64_e32 v[162:163], v[22:23], v[104:105]
	v_add_f64 v[16:17], v[36:37], -v[170:171]
	v_add_f64 v[18:19], v[24:25], -v[34:35]
	s_waitcnt lgkmcnt(0)
	s_barrier
	s_waitcnt vmcnt(10)
	v_mul_f64 v[12:13], v[142:143], v[150:151]
	v_fma_f64 v[144:145], v[140:141], v[148:149], -v[12:13]
	s_waitcnt vmcnt(9)
	v_mul_f64 v[12:13], v[10:11], v[178:179]
	v_fma_f64 v[82:83], v[8:9], v[176:177], -v[12:13]
	v_mul_f64 v[74:75], v[8:9], v[178:179]
	s_waitcnt vmcnt(7)
	v_mul_f64 v[8:9], v[62:63], v[186:187]
	v_fma_f64 v[98:99], v[60:61], v[184:185], -v[8:9]
	v_mul_f64 v[8:9], v[58:59], v[182:183]
	v_fma_f64 v[112:113], v[56:57], v[180:181], -v[8:9]
	s_waitcnt vmcnt(5)
	v_mul_f64 v[8:9], v[54:55], v[126:127]
	v_fma_f64 v[90:91], v[52:53], v[124:125], -v[8:9]
	v_mul_f64 v[8:9], v[50:51], v[122:123]
	v_fma_f64 v[114:115], v[48:49], v[120:121], -v[8:9]
	v_mul_f64 v[106:107], v[48:49], v[122:123]
	v_fmac_f64_e32 v[106:107], v[50:51], v[120:121]
	s_waitcnt vmcnt(4)
	v_mul_f64 v[108:109], v[132:133], v[118:119]
	s_waitcnt vmcnt(3)
	v_mul_f64 v[8:9], v[46:47], v[238:239]
	v_fma_f64 v[92:93], v[44:45], v[236:237], -v[8:9]
	v_mul_f64 v[8:9], v[134:135], v[118:119]
	v_fma_f64 v[120:121], v[132:133], v[116:117], -v[8:9]
	s_waitcnt vmcnt(1)
	v_mul_f64 v[8:9], v[138:139], v[252:253]
	v_fma_f64 v[94:95], v[136:137], v[250:251], -v[8:9]
	v_mul_f64 v[8:9], v[130:131], v[242:243]
	v_fmac_f64_e32 v[108:109], v[134:135], v[116:117]
	v_fma_f64 v[116:117], v[128:129], v[240:241], -v[8:9]
	s_waitcnt vmcnt(0)
	v_mul_f64 v[8:9], v[234:235], v[248:249]
	v_fma_f64 v[100:101], v[232:233], v[246:247], -v[8:9]
	v_add_f64 v[8:9], v[40:41], v[222:223]
	v_add_f64 v[8:9], v[8:9], v[224:225]
	;; [unrolled: 1-line block ×5, first 2 shown]
	v_fma_f64 v[30:31], -0.5, v[8:9], v[40:41]
	v_add_f64 v[8:9], v[196:197], -v[172:173]
	v_fmac_f64_e32 v[74:75], v[10:11], v[176:177]
	v_fma_f64 v[32:33], s[10:11], v[8:9], v[30:31]
	v_add_f64 v[10:11], v[226:227], -v[228:229]
	v_add_f64 v[12:13], v[222:223], -v[224:225]
	v_fmac_f64_e32 v[30:31], s[8:9], v[8:9]
	v_fmac_f64_e32 v[32:33], s[12:13], v[10:11]
	v_add_f64 v[12:13], v[12:13], v[14:15]
	v_fmac_f64_e32 v[30:31], s[2:3], v[10:11]
	v_fmac_f64_e32 v[32:33], s[6:7], v[12:13]
	;; [unrolled: 1-line block ×3, first 2 shown]
	v_add_f64 v[12:13], v[222:223], v[208:209]
	v_fmac_f64_e32 v[40:41], -0.5, v[12:13]
	v_mul_f64 v[86:87], v[44:45], v[238:239]
	v_fma_f64 v[44:45], s[8:9], v[10:11], v[40:41]
	v_fmac_f64_e32 v[40:41], s[10:11], v[10:11]
	v_fmac_f64_e32 v[44:45], s[12:13], v[8:9]
	;; [unrolled: 1-line block ×3, first 2 shown]
	v_add_f64 v[8:9], v[42:43], v[196:197]
	v_add_f64 v[8:9], v[8:9], v[226:227]
	;; [unrolled: 1-line block ×3, first 2 shown]
	v_add_f64 v[12:13], v[224:225], -v[222:223]
	v_add_f64 v[14:15], v[230:231], -v[208:209]
	v_add_f64 v[38:39], v[8:9], v[172:173]
	v_add_f64 v[8:9], v[226:227], v[228:229]
	;; [unrolled: 1-line block ×3, first 2 shown]
	v_fma_f64 v[48:49], -0.5, v[8:9], v[42:43]
	v_add_f64 v[8:9], v[222:223], -v[208:209]
	v_fmac_f64_e32 v[86:87], v[46:47], v[236:237]
	v_fmac_f64_e32 v[44:45], s[6:7], v[12:13]
	;; [unrolled: 1-line block ×3, first 2 shown]
	v_fma_f64 v[46:47], s[8:9], v[8:9], v[48:49]
	v_add_f64 v[10:11], v[224:225], -v[230:231]
	v_add_f64 v[12:13], v[196:197], -v[226:227]
	;; [unrolled: 1-line block ×3, first 2 shown]
	v_fmac_f64_e32 v[48:49], s[10:11], v[8:9]
	v_fmac_f64_e32 v[46:47], s[2:3], v[10:11]
	v_add_f64 v[12:13], v[12:13], v[14:15]
	v_fmac_f64_e32 v[48:49], s[12:13], v[10:11]
	v_fmac_f64_e32 v[46:47], s[6:7], v[12:13]
	;; [unrolled: 1-line block ×3, first 2 shown]
	v_add_f64 v[12:13], v[196:197], v[172:173]
	v_fmac_f64_e32 v[42:43], -0.5, v[12:13]
	v_fma_f64 v[50:51], s[10:11], v[10:11], v[42:43]
	v_fmac_f64_e32 v[42:43], s[8:9], v[10:11]
	v_fmac_f64_e32 v[50:51], s[2:3], v[8:9]
	;; [unrolled: 1-line block ×3, first 2 shown]
	v_add_f64 v[8:9], v[188:189], v[194:195]
	v_add_f64 v[8:9], v[8:9], v[220:221]
	;; [unrolled: 1-line block ×3, first 2 shown]
	v_mul_f64 v[84:85], v[52:53], v[126:127]
	v_add_f64 v[12:13], v[226:227], -v[196:197]
	v_add_f64 v[14:15], v[228:229], -v[172:173]
	v_add_f64 v[52:53], v[8:9], v[36:37]
	v_add_f64 v[8:9], v[220:221], v[170:171]
	v_add_f64 v[12:13], v[12:13], v[14:15]
	v_fma_f64 v[22:23], -0.5, v[8:9], v[188:189]
	v_add_f64 v[8:9], v[192:193], -v[24:25]
	v_fmac_f64_e32 v[50:51], s[6:7], v[12:13]
	v_fmac_f64_e32 v[42:43], s[6:7], v[12:13]
	v_fma_f64 v[10:11], s[10:11], v[8:9], v[22:23]
	v_add_f64 v[12:13], v[168:169], -v[34:35]
	v_add_f64 v[14:15], v[194:195], -v[220:221]
	v_fmac_f64_e32 v[22:23], s[8:9], v[8:9]
	v_fmac_f64_e32 v[10:11], s[12:13], v[12:13]
	v_add_f64 v[14:15], v[14:15], v[16:17]
	v_fmac_f64_e32 v[22:23], s[2:3], v[12:13]
	v_fmac_f64_e32 v[10:11], s[6:7], v[14:15]
	;; [unrolled: 1-line block ×3, first 2 shown]
	v_add_f64 v[14:15], v[194:195], v[36:37]
	v_fmac_f64_e32 v[188:189], -0.5, v[14:15]
	v_fma_f64 v[26:27], s[8:9], v[12:13], v[188:189]
	v_fmac_f64_e32 v[188:189], s[10:11], v[12:13]
	v_fmac_f64_e32 v[26:27], s[12:13], v[8:9]
	;; [unrolled: 1-line block ×3, first 2 shown]
	v_add_f64 v[8:9], v[190:191], v[192:193]
	v_add_f64 v[8:9], v[8:9], v[168:169]
	;; [unrolled: 1-line block ×3, first 2 shown]
	v_fmac_f64_e32 v[84:85], v[54:55], v[124:125]
	v_add_f64 v[14:15], v[220:221], -v[194:195]
	v_add_f64 v[16:17], v[170:171], -v[36:37]
	v_add_f64 v[54:55], v[8:9], v[24:25]
	v_add_f64 v[8:9], v[168:169], v[34:35]
	v_mul_f64 v[104:105], v[56:57], v[182:183]
	v_add_f64 v[14:15], v[14:15], v[16:17]
	v_fma_f64 v[56:57], -0.5, v[8:9], v[190:191]
	v_add_f64 v[8:9], v[194:195], -v[36:37]
	v_fmac_f64_e32 v[26:27], s[6:7], v[14:15]
	v_fmac_f64_e32 v[188:189], s[6:7], v[14:15]
	v_fma_f64 v[14:15], s[8:9], v[8:9], v[56:57]
	v_add_f64 v[12:13], v[220:221], -v[170:171]
	v_add_f64 v[16:17], v[192:193], -v[168:169]
	v_fmac_f64_e32 v[56:57], s[10:11], v[8:9]
	v_fmac_f64_e32 v[14:15], s[2:3], v[12:13]
	v_add_f64 v[16:17], v[16:17], v[18:19]
	v_fmac_f64_e32 v[56:57], s[12:13], v[12:13]
	v_fmac_f64_e32 v[14:15], s[6:7], v[16:17]
	;; [unrolled: 1-line block ×3, first 2 shown]
	v_add_f64 v[16:17], v[192:193], v[24:25]
	v_fmac_f64_e32 v[190:191], -0.5, v[16:17]
	v_fma_f64 v[36:37], s[10:11], v[12:13], v[190:191]
	v_add_f64 v[16:17], v[168:169], -v[192:193]
	v_add_f64 v[18:19], v[34:35], -v[24:25]
	v_fmac_f64_e32 v[36:37], s[2:3], v[8:9]
	v_add_f64 v[16:17], v[16:17], v[18:19]
	v_fmac_f64_e32 v[190:191], s[8:9], v[12:13]
	v_fmac_f64_e32 v[36:37], s[6:7], v[16:17]
	;; [unrolled: 1-line block ×5, first 2 shown]
	v_mul_f64 v[58:59], v[36:37], s[10:11]
	v_mul_f64 v[18:19], v[188:189], s[6:7]
	;; [unrolled: 1-line block ×5, first 2 shown]
	v_fmac_f64_e32 v[58:59], s[6:7], v[26:27]
	v_fma_f64 v[60:61], v[190:191], s[10:11], -v[18:19]
	v_mul_f64 v[18:19], v[22:23], s[14:15]
	v_mul_f64 v[118:119], v[10:11], s[2:3]
	v_fmac_f64_e32 v[122:123], s[6:7], v[36:37]
	v_mul_f64 v[26:27], v[190:191], s[6:7]
	v_mul_f64 v[36:37], v[56:57], s[14:15]
	v_fmac_f64_e32 v[102:103], v[62:63], v[184:185]
	v_fmac_f64_e32 v[34:35], s[14:15], v[10:11]
	v_fma_f64 v[62:63], v[56:57], s[12:13], -v[18:19]
	v_fmac_f64_e32 v[118:119], s[14:15], v[14:15]
	v_fma_f64 v[124:125], v[188:189], s[8:9], -v[26:27]
	v_fma_f64 v[56:57], v[22:23], s[2:3], -v[36:37]
	v_add_f64 v[12:13], v[32:33], v[34:35]
	v_add_f64 v[14:15], v[46:47], v[118:119]
	;; [unrolled: 1-line block ×4, first 2 shown]
	v_add_f64 v[32:33], v[32:33], -v[34:35]
	v_add_f64 v[34:35], v[46:47], -v[118:119]
	;; [unrolled: 1-line block ×4, first 2 shown]
	v_add_f64 v[48:49], v[4:5], v[164:165]
	v_add_f64 v[48:49], v[48:49], v[166:167]
	v_mul_f64 v[140:141], v[140:141], v[150:151]
	v_add_f64 v[48:49], v[48:49], v[156:157]
	v_fmac_f64_e32 v[140:141], v[142:143], v[148:149]
	v_add_f64 v[16:17], v[28:29], v[52:53]
	v_add_f64 v[8:9], v[44:45], v[58:59]
	;; [unrolled: 1-line block ×5, first 2 shown]
	v_add_f64 v[36:37], v[28:29], -v[52:53]
	v_add_f64 v[28:29], v[44:45], -v[58:59]
	;; [unrolled: 1-line block ×5, first 2 shown]
	v_add_f64 v[122:123], v[48:49], v[144:145]
	v_add_f64 v[48:49], v[166:167], v[156:157]
	v_fma_f64 v[118:119], -0.5, v[48:49], v[4:5]
	v_add_f64 v[48:49], v[160:161], -v[140:141]
	v_add_f64 v[18:19], v[38:39], v[54:55]
	v_add_f64 v[38:39], v[38:39], -v[54:55]
	v_fma_f64 v[124:125], s[10:11], v[48:49], v[118:119]
	v_add_f64 v[50:51], v[162:163], -v[154:155]
	v_add_f64 v[52:53], v[164:165], -v[166:167]
	;; [unrolled: 1-line block ×3, first 2 shown]
	v_fmac_f64_e32 v[118:119], s[8:9], v[48:49]
	v_fmac_f64_e32 v[124:125], s[12:13], v[50:51]
	v_add_f64 v[52:53], v[52:53], v[54:55]
	v_fmac_f64_e32 v[118:119], s[2:3], v[50:51]
	v_fmac_f64_e32 v[124:125], s[6:7], v[52:53]
	;; [unrolled: 1-line block ×3, first 2 shown]
	v_add_f64 v[52:53], v[164:165], v[144:145]
	v_mul_f64 v[110:111], v[128:129], v[242:243]
	v_fmac_f64_e32 v[4:5], -0.5, v[52:53]
	v_fmac_f64_e32 v[110:111], v[130:131], v[240:241]
	v_fma_f64 v[130:131], s[8:9], v[50:51], v[4:5]
	v_fmac_f64_e32 v[4:5], s[10:11], v[50:51]
	v_fmac_f64_e32 v[130:131], s[12:13], v[48:49]
	;; [unrolled: 1-line block ×3, first 2 shown]
	v_add_f64 v[48:49], v[6:7], v[160:161]
	v_add_f64 v[48:49], v[48:49], v[162:163]
	v_add_f64 v[48:49], v[48:49], v[154:155]
	v_add_f64 v[52:53], v[166:167], -v[164:165]
	v_add_f64 v[54:55], v[156:157], -v[144:145]
	v_add_f64 v[126:127], v[48:49], v[140:141]
	v_add_f64 v[48:49], v[162:163], v[154:155]
	;; [unrolled: 1-line block ×3, first 2 shown]
	v_fma_f64 v[128:129], -0.5, v[48:49], v[6:7]
	v_add_f64 v[48:49], v[164:165], -v[144:145]
	v_fmac_f64_e32 v[130:131], s[6:7], v[52:53]
	v_fmac_f64_e32 v[4:5], s[6:7], v[52:53]
	v_fma_f64 v[132:133], s[8:9], v[48:49], v[128:129]
	v_add_f64 v[50:51], v[166:167], -v[156:157]
	v_add_f64 v[52:53], v[160:161], -v[162:163]
	;; [unrolled: 1-line block ×3, first 2 shown]
	v_fmac_f64_e32 v[128:129], s[10:11], v[48:49]
	v_fmac_f64_e32 v[132:133], s[2:3], v[50:51]
	v_add_f64 v[52:53], v[52:53], v[54:55]
	v_fmac_f64_e32 v[128:129], s[12:13], v[50:51]
	v_fmac_f64_e32 v[132:133], s[6:7], v[52:53]
	;; [unrolled: 1-line block ×3, first 2 shown]
	v_add_f64 v[52:53], v[160:161], v[140:141]
	v_fmac_f64_e32 v[6:7], -0.5, v[52:53]
	v_fma_f64 v[134:135], s[10:11], v[50:51], v[6:7]
	v_fmac_f64_e32 v[6:7], s[8:9], v[50:51]
	v_fmac_f64_e32 v[134:135], s[2:3], v[48:49]
	;; [unrolled: 1-line block ×3, first 2 shown]
	v_add_f64 v[48:49], v[66:67], v[76:77]
	v_add_f64 v[48:49], v[48:49], v[78:79]
	;; [unrolled: 1-line block ×3, first 2 shown]
	v_mul_f64 v[88:89], v[136:137], v[252:253]
	v_add_f64 v[52:53], v[162:163], -v[160:161]
	v_add_f64 v[54:55], v[154:155], -v[140:141]
	v_add_f64 v[136:137], v[48:49], v[82:83]
	v_add_f64 v[48:49], v[78:79], v[80:81]
	;; [unrolled: 1-line block ×3, first 2 shown]
	v_fma_f64 v[62:63], -0.5, v[48:49], v[66:67]
	v_add_f64 v[48:49], v[64:65], -v[74:75]
	v_fmac_f64_e32 v[134:135], s[6:7], v[52:53]
	v_fmac_f64_e32 v[6:7], s[6:7], v[52:53]
	v_fma_f64 v[50:51], s[10:11], v[48:49], v[62:63]
	v_add_f64 v[52:53], v[70:71], -v[72:73]
	v_add_f64 v[54:55], v[76:77], -v[78:79]
	;; [unrolled: 1-line block ×3, first 2 shown]
	v_fmac_f64_e32 v[62:63], s[8:9], v[48:49]
	v_fmac_f64_e32 v[50:51], s[12:13], v[52:53]
	v_add_f64 v[54:55], v[54:55], v[56:57]
	v_fmac_f64_e32 v[62:63], s[2:3], v[52:53]
	v_fmac_f64_e32 v[50:51], s[6:7], v[54:55]
	;; [unrolled: 1-line block ×3, first 2 shown]
	v_add_f64 v[54:55], v[76:77], v[82:83]
	v_fmac_f64_e32 v[66:67], -0.5, v[54:55]
	v_fmac_f64_e32 v[88:89], v[138:139], v[250:251]
	v_fma_f64 v[138:139], s[8:9], v[52:53], v[66:67]
	v_fmac_f64_e32 v[66:67], s[10:11], v[52:53]
	v_fmac_f64_e32 v[138:139], s[12:13], v[48:49]
	v_fmac_f64_e32 v[66:67], s[2:3], v[48:49]
	v_add_f64 v[48:49], v[68:69], v[64:65]
	v_add_f64 v[48:49], v[48:49], v[70:71]
	;; [unrolled: 1-line block ×3, first 2 shown]
	v_add_f64 v[54:55], v[78:79], -v[76:77]
	v_add_f64 v[56:57], v[80:81], -v[82:83]
	v_add_f64 v[140:141], v[48:49], v[74:75]
	v_add_f64 v[48:49], v[70:71], v[72:73]
	;; [unrolled: 1-line block ×3, first 2 shown]
	v_fma_f64 v[142:143], -0.5, v[48:49], v[68:69]
	v_add_f64 v[48:49], v[76:77], -v[82:83]
	v_fmac_f64_e32 v[138:139], s[6:7], v[54:55]
	v_fmac_f64_e32 v[66:67], s[6:7], v[54:55]
	v_fma_f64 v[54:55], s[8:9], v[48:49], v[142:143]
	v_add_f64 v[52:53], v[78:79], -v[80:81]
	v_add_f64 v[56:57], v[64:65], -v[70:71]
	;; [unrolled: 1-line block ×3, first 2 shown]
	v_fmac_f64_e32 v[142:143], s[10:11], v[48:49]
	v_fmac_f64_e32 v[54:55], s[2:3], v[52:53]
	v_add_f64 v[56:57], v[56:57], v[58:59]
	v_fmac_f64_e32 v[142:143], s[12:13], v[52:53]
	v_fmac_f64_e32 v[54:55], s[6:7], v[56:57]
	;; [unrolled: 1-line block ×3, first 2 shown]
	v_add_f64 v[56:57], v[64:65], v[74:75]
	v_fmac_f64_e32 v[68:69], -0.5, v[56:57]
	v_fma_f64 v[76:77], s[10:11], v[52:53], v[68:69]
	v_add_f64 v[56:57], v[70:71], -v[64:65]
	v_add_f64 v[58:59], v[72:73], -v[74:75]
	v_fmac_f64_e32 v[68:69], s[8:9], v[52:53]
	v_add_f64 v[56:57], v[56:57], v[58:59]
	v_fmac_f64_e32 v[68:69], s[12:13], v[48:49]
	v_fmac_f64_e32 v[68:69], s[6:7], v[56:57]
	v_mul_f64 v[58:59], v[66:67], s[6:7]
	v_fma_f64 v[78:79], v[68:69], s[10:11], -v[58:59]
	v_mul_f64 v[58:59], v[62:63], s[14:15]
	v_fma_f64 v[82:83], v[142:143], s[12:13], -v[58:59]
	v_fmac_f64_e32 v[76:77], s[2:3], v[48:49]
	v_add_f64 v[64:65], v[4:5], v[78:79]
	v_add_f64 v[60:61], v[118:119], v[82:83]
	v_add_f64 v[80:81], v[4:5], -v[78:79]
	v_add_f64 v[4:5], v[118:119], -v[82:83]
	v_add_f64 v[118:119], v[0:1], v[112:113]
	v_fmac_f64_e32 v[76:77], s[6:7], v[56:57]
	v_mul_f64 v[70:71], v[54:55], s[12:13]
	v_add_f64 v[118:119], v[118:119], v[114:115]
	v_fmac_f64_e32 v[70:71], s[14:15], v[50:51]
	v_mul_f64 v[74:75], v[76:77], s[10:11]
	v_mul_f64 v[68:69], v[68:69], s[6:7]
	v_add_f64 v[118:119], v[118:119], v[120:121]
	v_add_f64 v[52:53], v[124:125], v[70:71]
	v_fmac_f64_e32 v[74:75], s[6:7], v[138:139]
	v_mul_f64 v[144:145], v[50:51], s[2:3]
	v_mul_f64 v[138:139], v[138:139], s[8:9]
	v_fma_f64 v[146:147], v[66:67], s[8:9], -v[68:69]
	v_mul_f64 v[68:69], v[142:143], s[14:15]
	v_add_f64 v[72:73], v[124:125], -v[70:71]
	v_add_f64 v[124:125], v[118:119], v[116:117]
	v_add_f64 v[118:119], v[114:115], v[120:121]
	;; [unrolled: 1-line block ×3, first 2 shown]
	v_fmac_f64_e32 v[144:145], s[14:15], v[54:55]
	v_fmac_f64_e32 v[138:139], s[6:7], v[76:77]
	v_fma_f64 v[142:143], v[62:63], s[2:3], -v[68:69]
	v_add_f64 v[76:77], v[122:123], -v[136:137]
	v_fma_f64 v[118:119], -0.5, v[118:119], v[0:1]
	v_add_f64 v[122:123], v[104:105], -v[110:111]
	v_add_f64 v[48:49], v[130:131], v[74:75]
	v_add_f64 v[58:59], v[126:127], v[140:141]
	;; [unrolled: 1-line block ×5, first 2 shown]
	v_add_f64 v[68:69], v[130:131], -v[74:75]
	v_add_f64 v[78:79], v[126:127], -v[140:141]
	;; [unrolled: 1-line block ×5, first 2 shown]
	v_fma_f64 v[126:127], s[10:11], v[122:123], v[118:119]
	v_add_f64 v[128:129], v[106:107], -v[108:109]
	v_add_f64 v[130:131], v[112:113], -v[114:115]
	;; [unrolled: 1-line block ×3, first 2 shown]
	v_fmac_f64_e32 v[118:119], s[8:9], v[122:123]
	v_fmac_f64_e32 v[126:127], s[12:13], v[128:129]
	v_add_f64 v[130:131], v[130:131], v[132:133]
	v_fmac_f64_e32 v[118:119], s[2:3], v[128:129]
	v_fmac_f64_e32 v[126:127], s[6:7], v[130:131]
	;; [unrolled: 1-line block ×3, first 2 shown]
	v_add_f64 v[130:131], v[112:113], v[116:117]
	v_fmac_f64_e32 v[0:1], -0.5, v[130:131]
	v_fma_f64 v[130:131], s[8:9], v[128:129], v[0:1]
	v_fmac_f64_e32 v[0:1], s[10:11], v[128:129]
	v_fmac_f64_e32 v[130:131], s[12:13], v[122:123]
	;; [unrolled: 1-line block ×3, first 2 shown]
	v_add_f64 v[122:123], v[2:3], v[104:105]
	v_add_f64 v[122:123], v[122:123], v[106:107]
	;; [unrolled: 1-line block ×4, first 2 shown]
	v_add_f64 v[70:71], v[134:135], -v[138:139]
	v_add_f64 v[132:133], v[114:115], -v[112:113]
	;; [unrolled: 1-line block ×3, first 2 shown]
	v_add_f64 v[128:129], v[122:123], v[110:111]
	v_add_f64 v[122:123], v[106:107], v[108:109]
	;; [unrolled: 1-line block ×3, first 2 shown]
	v_fma_f64 v[122:123], -0.5, v[122:123], v[2:3]
	v_add_f64 v[112:113], v[112:113], -v[116:117]
	v_fmac_f64_e32 v[130:131], s[6:7], v[132:133]
	v_fmac_f64_e32 v[0:1], s[6:7], v[132:133]
	v_fma_f64 v[132:133], s[8:9], v[112:113], v[122:123]
	v_add_f64 v[114:115], v[114:115], -v[120:121]
	v_add_f64 v[116:117], v[104:105], -v[106:107]
	;; [unrolled: 1-line block ×3, first 2 shown]
	v_fmac_f64_e32 v[122:123], s[10:11], v[112:113]
	v_fmac_f64_e32 v[132:133], s[2:3], v[114:115]
	v_add_f64 v[116:117], v[116:117], v[120:121]
	v_fmac_f64_e32 v[122:123], s[12:13], v[114:115]
	v_mul_f64 v[96:97], v[232:233], v[248:249]
	v_fmac_f64_e32 v[132:133], s[6:7], v[116:117]
	v_fmac_f64_e32 v[122:123], s[6:7], v[116:117]
	v_add_f64 v[116:117], v[104:105], v[110:111]
	v_add_f64 v[104:105], v[106:107], -v[104:105]
	v_add_f64 v[106:107], v[108:109], -v[110:111]
	v_fmac_f64_e32 v[96:97], v[234:235], v[246:247]
	v_fmac_f64_e32 v[2:3], -0.5, v[116:117]
	v_add_f64 v[104:105], v[104:105], v[106:107]
	v_add_f64 v[106:107], v[92:93], v[94:95]
	v_fma_f64 v[120:121], s[10:11], v[114:115], v[2:3]
	v_fmac_f64_e32 v[2:3], s[8:9], v[114:115]
	v_fma_f64 v[106:107], -0.5, v[106:107], v[98:99]
	v_add_f64 v[108:109], v[84:85], -v[96:97]
	v_fmac_f64_e32 v[120:121], s[2:3], v[112:113]
	v_fmac_f64_e32 v[2:3], s[12:13], v[112:113]
	v_fma_f64 v[110:111], s[10:11], v[108:109], v[106:107]
	v_add_f64 v[112:113], v[86:87], -v[88:89]
	v_add_f64 v[114:115], v[90:91], -v[92:93]
	;; [unrolled: 1-line block ×3, first 2 shown]
	v_fmac_f64_e32 v[106:107], s[8:9], v[108:109]
	v_fmac_f64_e32 v[110:111], s[12:13], v[112:113]
	v_add_f64 v[114:115], v[114:115], v[116:117]
	v_fmac_f64_e32 v[106:107], s[2:3], v[112:113]
	v_fmac_f64_e32 v[110:111], s[6:7], v[114:115]
	;; [unrolled: 1-line block ×3, first 2 shown]
	v_add_f64 v[114:115], v[90:91], v[100:101]
	v_fmac_f64_e32 v[120:121], s[6:7], v[104:105]
	v_fmac_f64_e32 v[2:3], s[6:7], v[104:105]
	v_add_f64 v[104:105], v[98:99], v[90:91]
	v_fmac_f64_e32 v[98:99], -0.5, v[114:115]
	v_fma_f64 v[114:115], s[8:9], v[112:113], v[98:99]
	v_fmac_f64_e32 v[98:99], s[10:11], v[112:113]
	v_fmac_f64_e32 v[114:115], s[12:13], v[108:109]
	v_fmac_f64_e32 v[98:99], s[2:3], v[108:109]
	v_add_f64 v[108:109], v[102:103], v[84:85]
	v_add_f64 v[108:109], v[108:109], v[86:87]
	;; [unrolled: 1-line block ×7, first 2 shown]
	v_add_f64 v[116:117], v[92:93], -v[90:91]
	v_fma_f64 v[108:109], -0.5, v[108:109], v[102:103]
	v_add_f64 v[90:91], v[90:91], -v[100:101]
	v_add_f64 v[104:105], v[104:105], v[100:101]
	v_add_f64 v[134:135], v[94:95], -v[100:101]
	v_fma_f64 v[112:113], s[8:9], v[90:91], v[108:109]
	v_add_f64 v[92:93], v[92:93], -v[94:95]
	v_add_f64 v[94:95], v[84:85], -v[86:87]
	;; [unrolled: 1-line block ×3, first 2 shown]
	v_fmac_f64_e32 v[108:109], s[10:11], v[90:91]
	v_fmac_f64_e32 v[112:113], s[2:3], v[92:93]
	v_add_f64 v[94:95], v[94:95], v[100:101]
	v_fmac_f64_e32 v[108:109], s[12:13], v[92:93]
	v_fmac_f64_e32 v[112:113], s[6:7], v[94:95]
	;; [unrolled: 1-line block ×3, first 2 shown]
	v_add_f64 v[94:95], v[84:85], v[96:97]
	v_add_f64 v[116:117], v[116:117], v[134:135]
	v_fmac_f64_e32 v[102:103], -0.5, v[94:95]
	v_fmac_f64_e32 v[114:115], s[6:7], v[116:117]
	v_fmac_f64_e32 v[98:99], s[6:7], v[116:117]
	v_fma_f64 v[116:117], s[10:11], v[92:93], v[102:103]
	v_add_f64 v[84:85], v[86:87], -v[84:85]
	v_add_f64 v[86:87], v[88:89], -v[96:97]
	v_fmac_f64_e32 v[102:103], s[8:9], v[92:93]
	v_add_f64 v[84:85], v[84:85], v[86:87]
	v_fmac_f64_e32 v[102:103], s[12:13], v[90:91]
	v_fmac_f64_e32 v[116:117], s[2:3], v[90:91]
	;; [unrolled: 1-line block ×3, first 2 shown]
	v_mul_f64 v[86:87], v[98:99], s[6:7]
	v_fmac_f64_e32 v[116:117], s[6:7], v[84:85]
	v_fma_f64 v[142:143], v[102:103], s[10:11], -v[86:87]
	v_mul_f64 v[146:147], v[114:115], s[8:9]
	v_mul_f64 v[102:103], v[102:103], s[6:7]
	;; [unrolled: 1-line block ×3, first 2 shown]
	v_fmac_f64_e32 v[146:147], s[6:7], v[116:117]
	v_fma_f64 v[148:149], v[98:99], s[8:9], -v[102:103]
	v_mul_f64 v[98:99], v[108:109], s[14:15]
	v_fma_f64 v[144:145], v[108:109], s[12:13], -v[86:87]
	v_add_f64 v[86:87], v[120:121], v[146:147]
	v_fma_f64 v[134:135], v[106:107], s[2:3], -v[98:99]
	v_add_f64 v[106:107], v[120:121], -v[146:147]
	v_mul_u32_u24_e32 v120, 0x12c0, v211
	v_lshlrev_b32_sdwa v121, v207, v201 dst_sel:DWORD dst_unused:UNUSED_PAD src0_sel:DWORD src1_sel:BYTE_0
	v_add3_u32 v120, 0, v120, v121
	ds_write_b128 v120, v[16:19]
	ds_write_b128 v120, v[12:15] offset:480
	ds_write_b128 v120, v[8:11] offset:960
	;; [unrolled: 1-line block ×9, first 2 shown]
	v_mul_u32_u24_e32 v8, 0x12c0, v199
	v_lshlrev_b32_sdwa v9, v207, v204 dst_sel:DWORD dst_unused:UNUSED_PAD src0_sel:DWORD src1_sel:BYTE_0
	v_mul_f64 v[138:139], v[112:113], s[12:13]
	v_add3_u32 v8, 0, v8, v9
	v_fmac_f64_e32 v[138:139], s[14:15], v[110:111]
	v_mul_f64 v[140:141], v[116:117], s[10:11]
	v_mul_f64 v[110:111], v[110:111], s[2:3]
	ds_write_b128 v8, v[56:59]
	ds_write_b128 v8, v[52:55] offset:480
	ds_write_b128 v8, v[48:51] offset:960
	;; [unrolled: 1-line block ×9, first 2 shown]
	v_mul_u32_u24_e32 v4, 0x12c0, v205
	v_lshlrev_b32_e32 v5, 4, v215
	v_add_f64 v[92:93], v[124:125], v[104:105]
	v_fmac_f64_e32 v[140:141], s[6:7], v[114:115]
	v_add_f64 v[100:101], v[0:1], v[142:143]
	v_add_f64 v[94:95], v[128:129], v[136:137]
	v_fmac_f64_e32 v[110:111], s[14:15], v[112:113]
	v_add_f64 v[116:117], v[0:1], -v[142:143]
	v_add_f64 v[0:1], v[118:119], -v[144:145]
	v_add3_u32 v4, 0, v4, v5
	v_add_f64 v[88:89], v[126:127], v[138:139]
	v_add_f64 v[84:85], v[130:131], v[140:141]
	;; [unrolled: 1-line block ×6, first 2 shown]
	v_add_f64 v[112:113], v[124:125], -v[104:105]
	v_add_f64 v[108:109], v[126:127], -v[138:139]
	;; [unrolled: 1-line block ×7, first 2 shown]
	ds_write_b128 v4, v[92:95]
	ds_write_b128 v4, v[88:91] offset:480
	ds_write_b128 v4, v[84:87] offset:960
	;; [unrolled: 1-line block ×9, first 2 shown]
	v_mul_u32_u24_e32 v0, 9, v198
	v_lshlrev_b32_e32 v220, 4, v0
	v_mov_b32_e32 v221, 0
	v_lshl_add_u64 v[0:1], s[4:5], 0, v[220:221]
	v_add_co_u32_e32 v40, vcc, s20, v0
	s_waitcnt lgkmcnt(0)
	s_nop 0
	v_addc_co_u32_e32 v41, vcc, 0, v1, vcc
	s_barrier
	global_load_dwordx4 v[92:95], v[40:41], off offset:544
	v_lshl_add_u64 v[2:3], v[0:1], 0, s[18:19]
	global_load_dwordx4 v[88:91], v[2:3], off offset:16
	global_load_dwordx4 v[80:83], v[2:3], off offset:32
	;; [unrolled: 1-line block ×3, first 2 shown]
	ds_read_b128 v[96:99], v212
	ds_read_b128 v[84:87], v214
	ds_read_b128 v[56:59], v244 offset:19200
	ds_read_b128 v[8:11], v244 offset:20800
	global_load_dwordx4 v[64:67], v[40:41], off offset:608
	v_lshl_add_u64 v[42:43], v[0:1], 0, s[16:17]
	global_load_dwordx4 v[28:31], v[42:43], off offset:32
	global_load_dwordx4 v[72:75], v[42:43], off offset:16
	v_mul_i32_i24_e32 v220, 9, v202
	ds_read_b128 v[76:79], v244 offset:28800
	ds_read_b128 v[24:27], v244 offset:30400
	;; [unrolled: 1-line block ×6, first 2 shown]
	ds_read_b128 v[4:7], v219
	ds_read_b128 v[0:3], v203
	ds_read_b128 v[36:39], v244 offset:6400
	ds_read_b128 v[16:19], v244 offset:8000
	global_load_dwordx4 v[48:51], v[42:43], off offset:48
	global_load_dwordx4 v[60:63], v[40:41], off offset:672
	v_lshl_add_u64 v[40:41], v[220:221], 4, s[4:5]
	v_add_co_u32_e32 v184, vcc, s20, v40
	v_lshl_add_u64 v[42:43], v[40:41], 0, s[18:19]
	s_nop 0
	v_addc_co_u32_e32 v185, vcc, 0, v41, vcc
	global_load_dwordx4 v[124:127], v[184:185], off offset:544
	ds_read_b128 v[120:123], v244 offset:11200
	ds_read_b128 v[68:71], v244 offset:12800
	global_load_dwordx4 v[144:147], v[42:43], off offset:16
	ds_read_b128 v[136:139], v244 offset:16000
	ds_read_b128 v[112:115], v244 offset:17600
	global_load_dwordx4 v[132:135], v[42:43], off offset:48
	global_load_dwordx4 v[140:143], v[42:43], off offset:32
	ds_read_b128 v[180:183], v244 offset:24000
	ds_read_b128 v[116:119], v244 offset:22400
	;; [unrolled: 1-line block ×4, first 2 shown]
	ds_read_b128 v[186:189], v213
	ds_read_b128 v[100:103], v244 offset:32000
	global_load_dwordx4 v[156:159], v[184:185], off offset:608
	v_lshl_add_u64 v[40:41], v[40:41], 0, s[16:17]
	ds_read_b128 v[176:179], v244 offset:38400
	ds_read_b128 v[148:151], v244 offset:36800
	global_load_dwordx4 v[172:175], v[40:41], off offset:16
	v_mul_i32_i24_e32 v220, 9, v218
	ds_read_b128 v[160:163], v244 offset:40000
	ds_read_b128 v[152:155], v244 offset:41600
	global_load_dwordx4 v[164:167], v[40:41], off offset:48
	global_load_dwordx4 v[168:171], v[40:41], off offset:32
	v_lshl_add_u64 v[204:205], v[220:221], 4, s[4:5]
	v_add_co_u32_e32 v212, vcc, s20, v204
	ds_read_b128 v[40:43], v244
	ds_read_b128 v[104:107], v244 offset:46400
	v_addc_co_u32_e32 v213, vcc, 0, v205, vcc
	v_lshl_add_u64 v[206:207], v[204:205], 0, s[18:19]
	v_cmp_ne_u32_e32 vcc, 0, v198
	s_waitcnt vmcnt(16) lgkmcnt(7)
	v_mul_f64 v[190:191], v[188:189], v[94:95]
	v_fma_f64 v[222:223], v[186:187], v[92:93], -v[190:191]
	v_mul_f64 v[224:225], v[186:187], v[94:95]
	global_load_dwordx4 v[184:187], v[184:185], off offset:672
	v_fmac_f64_e32 v[224:225], v[188:189], v[92:93]
	global_load_dwordx4 v[190:193], v[212:213], off offset:544
	global_load_dwordx4 v[92:95], v[206:207], off offset:32
	;; [unrolled: 1-line block ×3, first 2 shown]
	s_waitcnt vmcnt(19)
	v_mul_f64 v[188:189], v[98:99], v[90:91]
	v_mul_f64 v[230:231], v[96:97], v[90:91]
	v_fma_f64 v[232:233], v[96:97], v[88:89], -v[188:189]
	v_fmac_f64_e32 v[230:231], v[98:99], v[88:89]
	s_waitcnt vmcnt(18)
	v_mul_f64 v[88:89], v[86:87], v[82:83]
	v_fma_f64 v[226:227], v[84:85], v[80:81], -v[88:89]
	v_mul_f64 v[188:189], v[84:85], v[82:83]
	global_load_dwordx4 v[82:85], v[206:207], off offset:48
	global_load_dwordx4 v[246:249], v[212:213], off offset:608
	v_fmac_f64_e32 v[188:189], v[86:87], v[80:81]
	s_waitcnt vmcnt(19)
	v_mul_f64 v[80:81], v[58:59], v[54:55]
	v_mul_f64 v[236:237], v[56:57], v[54:55]
	v_lshl_add_u64 v[54:55], v[204:205], 0, s[16:17]
	global_load_dwordx4 v[250:253], v[54:55], off offset:32
	global_load_dwordx4 v[204:207], v[54:55], off offset:16
	;; [unrolled: 1-line block ×3, first 2 shown]
	v_fma_f64 v[234:235], v[56:57], v[52:53], -v[80:81]
	global_load_dwordx4 v[212:215], v[212:213], off offset:672
	v_fmac_f64_e32 v[236:237], v[58:59], v[52:53]
	s_waitcnt vmcnt(22)
	v_mul_f64 v[52:53], v[182:183], v[66:67]
	v_fma_f64 v[228:229], v[180:181], v[64:65], -v[52:53]
	s_waitcnt vmcnt(20)
	v_mul_f64 v[52:53], v[78:79], v[74:75]
	v_mul_f64 v[180:181], v[180:181], v[66:67]
	v_fma_f64 v[240:241], v[76:77], v[72:73], -v[52:53]
	v_mul_f64 v[52:53], v[46:47], v[30:31]
	v_mul_f64 v[30:31], v[44:45], v[30:31]
	v_fmac_f64_e32 v[180:181], v[182:183], v[64:65]
	v_fma_f64 v[182:183], v[44:45], v[28:29], -v[52:53]
	v_fmac_f64_e32 v[30:31], v[46:47], v[28:29]
	s_waitcnt vmcnt(19) lgkmcnt(5)
	v_mul_f64 v[28:29], v[178:179], v[50:51]
	v_fma_f64 v[242:243], v[176:177], v[48:49], -v[28:29]
	s_waitcnt vmcnt(18)
	v_mul_f64 v[28:29], v[34:35], v[62:63]
	v_fma_f64 v[44:45], v[32:33], v[60:61], -v[28:29]
	v_mul_f64 v[28:29], v[32:33], v[62:63]
	s_waitcnt vmcnt(17)
	v_mul_f64 v[32:33], v[38:39], v[126:127]
	v_fma_f64 v[62:63], v[36:37], v[124:125], -v[32:33]
	s_waitcnt vmcnt(16)
	v_mul_f64 v[32:33], v[122:123], v[146:147]
	v_fma_f64 v[80:81], v[120:121], v[144:145], -v[32:33]
	;; [unrolled: 3-line block ×3, first 2 shown]
	v_mul_f64 v[32:33], v[10:11], v[134:135]
	v_mul_f64 v[238:239], v[76:77], v[74:75]
	;; [unrolled: 1-line block ×3, first 2 shown]
	v_fma_f64 v[126:127], v[8:9], v[132:133], -v[32:33]
	v_mul_f64 v[74:75], v[8:9], v[134:135]
	s_waitcnt vmcnt(13)
	v_mul_f64 v[8:9], v[130:131], v[158:159]
	v_fma_f64 v[58:59], v[128:129], v[156:157], -v[8:9]
	s_waitcnt vmcnt(12)
	v_mul_f64 v[8:9], v[26:27], v[174:175]
	v_mul_f64 v[176:177], v[176:177], v[50:51]
	;; [unrolled: 1-line block ×3, first 2 shown]
	v_fma_f64 v[128:129], v[24:25], v[172:173], -v[8:9]
	s_waitcnt vmcnt(10)
	v_mul_f64 v[8:9], v[22:23], v[170:171]
	v_fmac_f64_e32 v[28:29], v[34:35], v[60:61]
	v_fma_f64 v[60:61], v[20:21], v[168:169], -v[8:9]
	s_waitcnt lgkmcnt(3)
	v_mul_f64 v[8:9], v[162:163], v[166:167]
	v_fmac_f64_e32 v[50:51], v[130:131], v[156:157]
	v_fma_f64 v[130:131], v[160:161], v[164:165], -v[8:9]
	v_fmac_f64_e32 v[66:67], v[38:39], v[124:125]
	v_fmac_f64_e32 v[176:177], v[178:179], v[48:49]
	;; [unrolled: 1-line block ×4, first 2 shown]
	v_add_f64 v[10:11], v[236:237], -v[238:239]
	v_mul_f64 v[72:73], v[120:121], v[146:147]
	v_fmac_f64_e32 v[72:73], v[122:123], v[144:145]
	v_mul_f64 v[52:53], v[20:21], v[170:171]
	v_fmac_f64_e32 v[52:53], v[22:23], v[168:169]
	;; [unrolled: 2-line block ×5, first 2 shown]
	s_waitcnt lgkmcnt(0)
	s_barrier
	s_waitcnt vmcnt(9)
	v_mul_f64 v[8:9], v[14:15], v[186:187]
	v_fma_f64 v[64:65], v[12:13], v[184:185], -v[8:9]
	s_waitcnt vmcnt(8)
	v_mul_f64 v[8:9], v[18:19], v[192:193]
	v_fma_f64 v[98:99], v[16:17], v[190:191], -v[8:9]
	;; [unrolled: 3-line block ×3, first 2 shown]
	v_mul_f64 v[8:9], v[114:115], v[94:95]
	v_fma_f64 v[90:91], v[112:113], v[92:93], -v[8:9]
	v_mul_f64 v[86:87], v[112:113], v[94:95]
	v_fmac_f64_e32 v[86:87], v[114:115], v[92:93]
	v_mul_f64 v[54:55], v[12:13], v[186:187]
	s_waitcnt vmcnt(5)
	v_mul_f64 v[8:9], v[118:119], v[84:85]
	v_fma_f64 v[114:115], v[116:117], v[82:83], -v[8:9]
	s_waitcnt vmcnt(4)
	v_mul_f64 v[8:9], v[110:111], v[248:249]
	v_mul_f64 v[112:113], v[116:117], v[84:85]
	v_fma_f64 v[92:93], v[108:109], v[246:247], -v[8:9]
	v_mul_f64 v[84:85], v[108:109], v[248:249]
	s_waitcnt vmcnt(2)
	v_mul_f64 v[8:9], v[102:103], v[206:207]
	v_fmac_f64_e32 v[84:85], v[110:111], v[246:247]
	v_fma_f64 v[110:111], v[100:101], v[204:205], -v[8:9]
	v_mul_f64 v[8:9], v[150:151], v[252:253]
	v_fma_f64 v[94:95], v[148:149], v[250:251], -v[8:9]
	s_waitcnt vmcnt(1)
	v_mul_f64 v[8:9], v[154:155], v[210:211]
	v_mul_f64 v[100:101], v[100:101], v[206:207]
	v_fma_f64 v[116:117], v[152:153], v[208:209], -v[8:9]
	s_waitcnt vmcnt(0)
	v_mul_f64 v[8:9], v[106:107], v[214:215]
	v_fmac_f64_e32 v[100:101], v[102:103], v[204:205]
	v_fma_f64 v[102:103], v[104:105], v[212:213], -v[8:9]
	v_add_f64 v[8:9], v[40:41], v[232:233]
	v_add_f64 v[8:9], v[8:9], v[234:235]
	;; [unrolled: 1-line block ×5, first 2 shown]
	v_fma_f64 v[34:35], -0.5, v[8:9], v[40:41]
	v_add_f64 v[8:9], v[230:231], -v[176:177]
	v_fmac_f64_e32 v[54:55], v[14:15], v[184:185]
	v_fma_f64 v[38:39], s[10:11], v[8:9], v[34:35]
	v_add_f64 v[12:13], v[232:233], -v[234:235]
	v_add_f64 v[14:15], v[242:243], -v[240:241]
	v_fmac_f64_e32 v[34:35], s[8:9], v[8:9]
	v_fmac_f64_e32 v[38:39], s[12:13], v[10:11]
	v_add_f64 v[12:13], v[12:13], v[14:15]
	v_fmac_f64_e32 v[34:35], s[2:3], v[10:11]
	v_fmac_f64_e32 v[38:39], s[6:7], v[12:13]
	;; [unrolled: 1-line block ×3, first 2 shown]
	v_add_f64 v[12:13], v[232:233], v[242:243]
	v_mul_f64 v[122:123], v[68:69], v[196:197]
	v_fmac_f64_e32 v[40:41], -0.5, v[12:13]
	v_fmac_f64_e32 v[122:123], v[70:71], v[194:195]
	v_fma_f64 v[70:71], s[8:9], v[10:11], v[40:41]
	v_fmac_f64_e32 v[40:41], s[10:11], v[10:11]
	v_fmac_f64_e32 v[70:71], s[12:13], v[8:9]
	;; [unrolled: 1-line block ×3, first 2 shown]
	v_add_f64 v[8:9], v[42:43], v[230:231]
	v_add_f64 v[8:9], v[8:9], v[236:237]
	;; [unrolled: 1-line block ×3, first 2 shown]
	v_add_f64 v[12:13], v[234:235], -v[232:233]
	v_add_f64 v[14:15], v[240:241], -v[242:243]
	v_add_f64 v[46:47], v[8:9], v[176:177]
	v_add_f64 v[8:9], v[236:237], v[238:239]
	;; [unrolled: 1-line block ×3, first 2 shown]
	v_fma_f64 v[68:69], -0.5, v[8:9], v[42:43]
	v_add_f64 v[8:9], v[232:233], -v[242:243]
	v_fmac_f64_e32 v[112:113], v[118:119], v[82:83]
	v_fmac_f64_e32 v[70:71], s[6:7], v[12:13]
	;; [unrolled: 1-line block ×3, first 2 shown]
	v_fma_f64 v[82:83], s[8:9], v[8:9], v[68:69]
	v_add_f64 v[10:11], v[234:235], -v[240:241]
	v_add_f64 v[12:13], v[230:231], -v[236:237]
	;; [unrolled: 1-line block ×3, first 2 shown]
	v_fmac_f64_e32 v[68:69], s[10:11], v[8:9]
	v_fmac_f64_e32 v[82:83], s[2:3], v[10:11]
	v_add_f64 v[12:13], v[12:13], v[14:15]
	v_fmac_f64_e32 v[68:69], s[12:13], v[10:11]
	v_fmac_f64_e32 v[82:83], s[6:7], v[12:13]
	;; [unrolled: 1-line block ×3, first 2 shown]
	v_add_f64 v[12:13], v[230:231], v[176:177]
	v_fmac_f64_e32 v[42:43], -0.5, v[12:13]
	v_mul_f64 v[96:97], v[104:105], v[214:215]
	v_fma_f64 v[104:105], s[10:11], v[10:11], v[42:43]
	v_fmac_f64_e32 v[42:43], s[8:9], v[10:11]
	v_fmac_f64_e32 v[104:105], s[2:3], v[8:9]
	;; [unrolled: 1-line block ×3, first 2 shown]
	v_add_f64 v[8:9], v[222:223], v[226:227]
	v_add_f64 v[8:9], v[8:9], v[228:229]
	v_add_f64 v[8:9], v[8:9], v[182:183]
	v_add_f64 v[12:13], v[236:237], -v[230:231]
	v_add_f64 v[14:15], v[238:239], -v[176:177]
	v_add_f64 v[36:37], v[8:9], v[44:45]
	v_add_f64 v[8:9], v[228:229], v[182:183]
	;; [unrolled: 1-line block ×3, first 2 shown]
	v_fma_f64 v[22:23], -0.5, v[8:9], v[222:223]
	v_add_f64 v[8:9], v[188:189], -v[28:29]
	v_mul_f64 v[120:121], v[16:17], v[192:193]
	v_fmac_f64_e32 v[104:105], s[6:7], v[12:13]
	v_fmac_f64_e32 v[42:43], s[6:7], v[12:13]
	v_fma_f64 v[10:11], s[10:11], v[8:9], v[22:23]
	v_add_f64 v[12:13], v[180:181], -v[30:31]
	v_add_f64 v[14:15], v[226:227], -v[228:229]
	;; [unrolled: 1-line block ×3, first 2 shown]
	v_fmac_f64_e32 v[22:23], s[8:9], v[8:9]
	v_fmac_f64_e32 v[10:11], s[12:13], v[12:13]
	v_add_f64 v[14:15], v[14:15], v[16:17]
	v_fmac_f64_e32 v[22:23], s[2:3], v[12:13]
	v_fmac_f64_e32 v[10:11], s[6:7], v[14:15]
	;; [unrolled: 1-line block ×3, first 2 shown]
	v_add_f64 v[14:15], v[226:227], v[44:45]
	v_fmac_f64_e32 v[222:223], -0.5, v[14:15]
	v_fma_f64 v[26:27], s[8:9], v[12:13], v[222:223]
	v_fmac_f64_e32 v[222:223], s[10:11], v[12:13]
	v_fmac_f64_e32 v[26:27], s[12:13], v[8:9]
	;; [unrolled: 1-line block ×3, first 2 shown]
	v_add_f64 v[8:9], v[224:225], v[188:189]
	v_add_f64 v[8:9], v[8:9], v[180:181]
	;; [unrolled: 1-line block ×3, first 2 shown]
	v_fmac_f64_e32 v[96:97], v[106:107], v[212:213]
	v_add_f64 v[14:15], v[228:229], -v[226:227]
	v_add_f64 v[16:17], v[182:183], -v[44:45]
	v_add_f64 v[106:107], v[8:9], v[28:29]
	v_add_f64 v[8:9], v[180:181], v[30:31]
	;; [unrolled: 1-line block ×3, first 2 shown]
	v_fma_f64 v[118:119], -0.5, v[8:9], v[224:225]
	v_add_f64 v[8:9], v[226:227], -v[44:45]
	v_fmac_f64_e32 v[120:121], v[18:19], v[190:191]
	v_fmac_f64_e32 v[26:27], s[6:7], v[14:15]
	v_fmac_f64_e32 v[222:223], s[6:7], v[14:15]
	v_fma_f64 v[14:15], s[8:9], v[8:9], v[118:119]
	v_add_f64 v[12:13], v[228:229], -v[182:183]
	v_add_f64 v[16:17], v[188:189], -v[180:181]
	;; [unrolled: 1-line block ×3, first 2 shown]
	v_fmac_f64_e32 v[118:119], s[10:11], v[8:9]
	v_fmac_f64_e32 v[14:15], s[2:3], v[12:13]
	v_add_f64 v[16:17], v[16:17], v[18:19]
	v_fmac_f64_e32 v[118:119], s[12:13], v[12:13]
	v_fmac_f64_e32 v[14:15], s[6:7], v[16:17]
	;; [unrolled: 1-line block ×3, first 2 shown]
	v_add_f64 v[16:17], v[188:189], v[28:29]
	v_fmac_f64_e32 v[224:225], -0.5, v[16:17]
	v_fma_f64 v[44:45], s[10:11], v[12:13], v[224:225]
	v_add_f64 v[16:17], v[180:181], -v[188:189]
	v_add_f64 v[18:19], v[30:31], -v[28:29]
	v_fmac_f64_e32 v[44:45], s[2:3], v[8:9]
	v_add_f64 v[16:17], v[16:17], v[18:19]
	v_fmac_f64_e32 v[44:45], s[6:7], v[16:17]
	v_fmac_f64_e32 v[224:225], s[8:9], v[12:13]
	;; [unrolled: 1-line block ×3, first 2 shown]
	v_mul_f64 v[28:29], v[14:15], s[12:13]
	v_mul_f64 v[30:31], v[44:45], s[10:11]
	v_fmac_f64_e32 v[224:225], s[6:7], v[16:17]
	v_fmac_f64_e32 v[28:29], s[14:15], v[10:11]
	;; [unrolled: 1-line block ×3, first 2 shown]
	v_mul_f64 v[18:19], v[222:223], s[6:7]
	v_mul_f64 v[138:139], v[26:27], s[8:9]
	v_add_f64 v[16:17], v[32:33], v[36:37]
	v_add_f64 v[12:13], v[38:39], v[28:29]
	;; [unrolled: 1-line block ×3, first 2 shown]
	v_fma_f64 v[132:133], v[224:225], s[10:11], -v[18:19]
	v_mul_f64 v[18:19], v[22:23], s[14:15]
	v_mul_f64 v[136:137], v[10:11], s[2:3]
	v_fmac_f64_e32 v[138:139], s[6:7], v[44:45]
	v_mul_f64 v[26:27], v[224:225], s[6:7]
	v_mul_f64 v[44:45], v[118:119], s[14:15]
	v_add_f64 v[36:37], v[32:33], -v[36:37]
	v_add_f64 v[32:33], v[38:39], -v[28:29]
	;; [unrolled: 1-line block ×3, first 2 shown]
	v_add_f64 v[70:71], v[126:127], v[128:129]
	v_fma_f64 v[134:135], v[118:119], s[12:13], -v[18:19]
	v_fmac_f64_e32 v[136:137], s[14:15], v[14:15]
	v_add_f64 v[10:11], v[104:105], v[138:139]
	v_fma_f64 v[140:141], v[222:223], s[8:9], -v[26:27]
	v_fma_f64 v[118:119], v[22:23], s[2:3], -v[44:45]
	v_add_f64 v[30:31], v[104:105], -v[138:139]
	v_fma_f64 v[70:71], -0.5, v[70:71], v[4:5]
	v_add_f64 v[104:105], v[72:73], -v[78:79]
	v_add_f64 v[24:25], v[40:41], v[132:133]
	v_add_f64 v[20:21], v[34:35], v[134:135]
	;; [unrolled: 1-line block ×6, first 2 shown]
	v_add_f64 v[44:45], v[40:41], -v[132:133]
	v_add_f64 v[40:41], v[34:35], -v[134:135]
	;; [unrolled: 1-line block ×6, first 2 shown]
	v_fma_f64 v[82:83], s[10:11], v[104:105], v[70:71]
	v_add_f64 v[106:107], v[74:75], -v[76:77]
	v_add_f64 v[118:119], v[80:81], -v[126:127]
	;; [unrolled: 1-line block ×3, first 2 shown]
	v_fmac_f64_e32 v[70:71], s[8:9], v[104:105]
	v_fmac_f64_e32 v[82:83], s[12:13], v[106:107]
	v_add_f64 v[118:119], v[118:119], v[132:133]
	v_fmac_f64_e32 v[70:71], s[2:3], v[106:107]
	v_fmac_f64_e32 v[82:83], s[6:7], v[118:119]
	;; [unrolled: 1-line block ×3, first 2 shown]
	v_add_f64 v[118:119], v[80:81], v[130:131]
	v_add_f64 v[68:69], v[4:5], v[80:81]
	v_fmac_f64_e32 v[4:5], -0.5, v[118:119]
	v_add_f64 v[68:69], v[68:69], v[126:127]
	v_fma_f64 v[118:119], s[8:9], v[106:107], v[4:5]
	v_add_f64 v[132:133], v[126:127], -v[80:81]
	v_add_f64 v[134:135], v[128:129], -v[130:131]
	v_fmac_f64_e32 v[4:5], s[10:11], v[106:107]
	v_add_f64 v[106:107], v[74:75], v[76:77]
	v_add_f64 v[68:69], v[68:69], v[128:129]
	v_fmac_f64_e32 v[118:119], s[12:13], v[104:105]
	v_add_f64 v[132:133], v[132:133], v[134:135]
	v_fmac_f64_e32 v[4:5], s[2:3], v[104:105]
	v_fma_f64 v[106:107], -0.5, v[106:107], v[6:7]
	v_add_f64 v[80:81], v[80:81], -v[130:131]
	v_add_f64 v[68:69], v[68:69], v[130:131]
	v_fmac_f64_e32 v[118:119], s[6:7], v[132:133]
	v_fmac_f64_e32 v[4:5], s[6:7], v[132:133]
	v_fma_f64 v[130:131], s[8:9], v[80:81], v[106:107]
	v_add_f64 v[128:129], v[126:127], -v[128:129]
	v_add_f64 v[126:127], v[72:73], -v[74:75]
	;; [unrolled: 1-line block ×3, first 2 shown]
	v_fmac_f64_e32 v[106:107], s[10:11], v[80:81]
	v_add_f64 v[104:105], v[6:7], v[72:73]
	v_fmac_f64_e32 v[130:131], s[2:3], v[128:129]
	v_add_f64 v[126:127], v[126:127], v[132:133]
	;; [unrolled: 2-line block ×3, first 2 shown]
	v_fmac_f64_e32 v[130:131], s[6:7], v[126:127]
	v_fmac_f64_e32 v[106:107], s[6:7], v[126:127]
	v_add_f64 v[126:127], v[72:73], v[78:79]
	v_add_f64 v[72:73], v[74:75], -v[72:73]
	v_add_f64 v[74:75], v[76:77], -v[78:79]
	v_fmac_f64_e32 v[6:7], -0.5, v[126:127]
	v_add_f64 v[72:73], v[72:73], v[74:75]
	v_add_f64 v[74:75], v[58:59], v[60:61]
	v_add_f64 v[104:105], v[104:105], v[76:77]
	v_fma_f64 v[126:127], s[10:11], v[128:129], v[6:7]
	v_fmac_f64_e32 v[6:7], s[8:9], v[128:129]
	v_fma_f64 v[74:75], -0.5, v[74:75], v[62:63]
	v_add_f64 v[76:77], v[48:49], -v[54:55]
	v_add_f64 v[104:105], v[104:105], v[78:79]
	v_fmac_f64_e32 v[126:127], s[2:3], v[80:81]
	v_fmac_f64_e32 v[6:7], s[12:13], v[80:81]
	v_fma_f64 v[78:79], s[10:11], v[76:77], v[74:75]
	v_add_f64 v[80:81], v[50:51], -v[52:53]
	v_add_f64 v[128:129], v[56:57], -v[58:59]
	;; [unrolled: 1-line block ×3, first 2 shown]
	v_fmac_f64_e32 v[74:75], s[8:9], v[76:77]
	v_fmac_f64_e32 v[78:79], s[12:13], v[80:81]
	v_add_f64 v[128:129], v[128:129], v[132:133]
	v_fmac_f64_e32 v[74:75], s[2:3], v[80:81]
	v_fmac_f64_e32 v[78:79], s[6:7], v[128:129]
	;; [unrolled: 1-line block ×3, first 2 shown]
	v_add_f64 v[128:129], v[56:57], v[64:65]
	v_fmac_f64_e32 v[126:127], s[6:7], v[72:73]
	v_fmac_f64_e32 v[6:7], s[6:7], v[72:73]
	v_add_f64 v[72:73], v[62:63], v[56:57]
	v_fmac_f64_e32 v[62:63], -0.5, v[128:129]
	v_fma_f64 v[128:129], s[8:9], v[80:81], v[62:63]
	v_fmac_f64_e32 v[62:63], s[10:11], v[80:81]
	v_fmac_f64_e32 v[128:129], s[12:13], v[76:77]
	;; [unrolled: 1-line block ×3, first 2 shown]
	v_add_f64 v[76:77], v[66:67], v[48:49]
	v_add_f64 v[132:133], v[58:59], -v[56:57]
	v_add_f64 v[134:135], v[60:61], -v[64:65]
	v_add_f64 v[76:77], v[76:77], v[50:51]
	v_add_f64 v[132:133], v[132:133], v[134:135]
	;; [unrolled: 1-line block ×4, first 2 shown]
	v_fmac_f64_e32 v[128:129], s[6:7], v[132:133]
	v_fmac_f64_e32 v[62:63], s[6:7], v[132:133]
	v_add_f64 v[132:133], v[76:77], v[54:55]
	v_add_f64 v[76:77], v[50:51], v[52:53]
	;; [unrolled: 1-line block ×3, first 2 shown]
	v_fma_f64 v[76:77], -0.5, v[76:77], v[66:67]
	v_add_f64 v[56:57], v[56:57], -v[64:65]
	v_add_f64 v[72:73], v[72:73], v[64:65]
	v_fma_f64 v[80:81], s[8:9], v[56:57], v[76:77]
	v_add_f64 v[58:59], v[58:59], -v[60:61]
	v_add_f64 v[60:61], v[48:49], -v[50:51]
	;; [unrolled: 1-line block ×3, first 2 shown]
	v_fmac_f64_e32 v[76:77], s[10:11], v[56:57]
	v_fmac_f64_e32 v[80:81], s[2:3], v[58:59]
	v_add_f64 v[60:61], v[60:61], v[64:65]
	v_fmac_f64_e32 v[76:77], s[12:13], v[58:59]
	v_fmac_f64_e32 v[80:81], s[6:7], v[60:61]
	;; [unrolled: 1-line block ×3, first 2 shown]
	v_add_f64 v[60:61], v[48:49], v[54:55]
	v_fmac_f64_e32 v[66:67], -0.5, v[60:61]
	v_fma_f64 v[134:135], s[10:11], v[58:59], v[66:67]
	v_add_f64 v[48:49], v[50:51], -v[48:49]
	v_add_f64 v[50:51], v[52:53], -v[54:55]
	v_fmac_f64_e32 v[134:135], s[2:3], v[56:57]
	v_add_f64 v[48:49], v[48:49], v[50:51]
	v_fmac_f64_e32 v[66:67], s[8:9], v[58:59]
	v_fmac_f64_e32 v[134:135], s[6:7], v[48:49]
	;; [unrolled: 1-line block ×4, first 2 shown]
	v_mul_f64 v[138:139], v[134:135], s[10:11]
	v_mul_f64 v[50:51], v[62:63], s[6:7]
	v_fmac_f64_e32 v[138:139], s[6:7], v[128:129]
	v_fma_f64 v[140:141], v[66:67], s[10:11], -v[50:51]
	v_mul_f64 v[128:129], v[128:129], s[8:9]
	v_mul_f64 v[66:67], v[66:67], s[6:7]
	;; [unrolled: 1-line block ×3, first 2 shown]
	v_fmac_f64_e32 v[128:129], s[6:7], v[134:135]
	v_fma_f64 v[134:135], v[62:63], s[8:9], -v[66:67]
	v_mul_f64 v[62:63], v[76:77], s[14:15]
	v_mul_f64 v[108:109], v[152:153], v[210:211]
	v_fmac_f64_e32 v[136:137], s[14:15], v[78:79]
	v_mul_f64 v[50:51], v[74:75], s[14:15]
	v_fma_f64 v[146:147], v[74:75], s[2:3], -v[62:63]
	v_fmac_f64_e32 v[108:109], v[154:155], v[208:209]
	v_add_f64 v[56:57], v[68:69], v[72:73]
	v_add_f64 v[52:53], v[82:83], v[136:137]
	v_fma_f64 v[142:143], v[76:77], s[12:13], -v[50:51]
	v_mul_f64 v[144:145], v[78:79], s[2:3]
	v_add_f64 v[66:67], v[6:7], v[134:135]
	v_add_f64 v[62:63], v[106:107], v[146:147]
	v_add_f64 v[76:77], v[68:69], -v[72:73]
	v_add_f64 v[72:73], v[82:83], -v[136:137]
	;; [unrolled: 1-line block ×4, first 2 shown]
	v_add_f64 v[106:107], v[114:115], v[110:111]
	v_add_f64 v[64:65], v[4:5], v[140:141]
	;; [unrolled: 1-line block ×3, first 2 shown]
	v_fmac_f64_e32 v[144:145], s[14:15], v[80:81]
	v_add_f64 v[50:51], v[126:127], v[128:129]
	v_add_f64 v[80:81], v[4:5], -v[140:141]
	v_add_f64 v[4:5], v[70:71], -v[142:143]
	v_add_f64 v[70:71], v[126:127], -v[128:129]
	v_fma_f64 v[106:107], -0.5, v[106:107], v[0:1]
	v_add_f64 v[126:127], v[122:123], -v[108:109]
	v_add_f64 v[48:49], v[118:119], v[138:139]
	v_add_f64 v[58:59], v[104:105], v[132:133]
	;; [unrolled: 1-line block ×3, first 2 shown]
	v_add_f64 v[68:69], v[118:119], -v[138:139]
	v_add_f64 v[78:79], v[104:105], -v[132:133]
	;; [unrolled: 1-line block ×3, first 2 shown]
	v_fma_f64 v[118:119], s[10:11], v[126:127], v[106:107]
	v_add_f64 v[128:129], v[112:113], -v[100:101]
	v_add_f64 v[130:131], v[124:125], -v[114:115]
	;; [unrolled: 1-line block ×3, first 2 shown]
	v_fmac_f64_e32 v[106:107], s[8:9], v[126:127]
	v_fmac_f64_e32 v[118:119], s[12:13], v[128:129]
	v_add_f64 v[130:131], v[130:131], v[132:133]
	v_fmac_f64_e32 v[106:107], s[2:3], v[128:129]
	v_fmac_f64_e32 v[118:119], s[6:7], v[130:131]
	;; [unrolled: 1-line block ×3, first 2 shown]
	v_add_f64 v[130:131], v[124:125], v[116:117]
	v_add_f64 v[104:105], v[0:1], v[124:125]
	v_fmac_f64_e32 v[0:1], -0.5, v[130:131]
	v_fma_f64 v[130:131], s[8:9], v[128:129], v[0:1]
	v_fmac_f64_e32 v[0:1], s[10:11], v[128:129]
	v_fmac_f64_e32 v[130:131], s[12:13], v[126:127]
	;; [unrolled: 1-line block ×3, first 2 shown]
	v_add_f64 v[126:127], v[2:3], v[122:123]
	v_add_f64 v[126:127], v[126:127], v[112:113]
	;; [unrolled: 1-line block ×5, first 2 shown]
	v_add_f64 v[132:133], v[114:115], -v[124:125]
	v_add_f64 v[134:135], v[110:111], -v[116:117]
	v_add_f64 v[128:129], v[126:127], v[108:109]
	v_add_f64 v[126:127], v[112:113], v[100:101]
	v_add_f64 v[104:105], v[104:105], v[116:117]
	v_add_f64 v[132:133], v[132:133], v[134:135]
	v_fma_f64 v[126:127], -0.5, v[126:127], v[2:3]
	v_add_f64 v[116:117], v[124:125], -v[116:117]
	v_fmac_f64_e32 v[130:131], s[6:7], v[132:133]
	v_fmac_f64_e32 v[0:1], s[6:7], v[132:133]
	v_fma_f64 v[124:125], s[8:9], v[116:117], v[126:127]
	v_add_f64 v[110:111], v[114:115], -v[110:111]
	v_add_f64 v[114:115], v[122:123], -v[112:113]
	;; [unrolled: 1-line block ×3, first 2 shown]
	v_fmac_f64_e32 v[126:127], s[10:11], v[116:117]
	v_fmac_f64_e32 v[124:125], s[2:3], v[110:111]
	v_add_f64 v[114:115], v[114:115], v[132:133]
	v_fmac_f64_e32 v[126:127], s[12:13], v[110:111]
	v_fmac_f64_e32 v[124:125], s[6:7], v[114:115]
	;; [unrolled: 1-line block ×3, first 2 shown]
	v_add_f64 v[114:115], v[122:123], v[108:109]
	v_fmac_f64_e32 v[2:3], -0.5, v[114:115]
	v_fma_f64 v[132:133], s[10:11], v[110:111], v[2:3]
	v_add_f64 v[112:113], v[112:113], -v[122:123]
	v_add_f64 v[100:101], v[100:101], -v[108:109]
	v_fmac_f64_e32 v[2:3], s[8:9], v[110:111]
	v_fmac_f64_e32 v[132:133], s[2:3], v[116:117]
	v_add_f64 v[100:101], v[112:113], v[100:101]
	v_fmac_f64_e32 v[2:3], s[12:13], v[116:117]
	v_fmac_f64_e32 v[132:133], s[6:7], v[100:101]
	v_fmac_f64_e32 v[2:3], s[6:7], v[100:101]
	v_add_f64 v[100:101], v[98:99], v[90:91]
	v_add_f64 v[100:101], v[100:101], v[92:93]
	;; [unrolled: 1-line block ×3, first 2 shown]
	v_mul_f64 v[88:89], v[148:149], v[252:253]
	v_add_f64 v[108:109], v[100:101], v[102:103]
	v_add_f64 v[100:101], v[92:93], v[94:95]
	v_fmac_f64_e32 v[88:89], v[150:151], v[250:251]
	v_fma_f64 v[110:111], -0.5, v[100:101], v[98:99]
	v_add_f64 v[100:101], v[86:87], -v[96:97]
	v_fma_f64 v[112:113], s[10:11], v[100:101], v[110:111]
	v_add_f64 v[114:115], v[84:85], -v[88:89]
	v_add_f64 v[116:117], v[90:91], -v[92:93]
	v_add_f64 v[122:123], v[102:103], -v[94:95]
	v_fmac_f64_e32 v[110:111], s[8:9], v[100:101]
	v_fmac_f64_e32 v[112:113], s[12:13], v[114:115]
	v_add_f64 v[116:117], v[116:117], v[122:123]
	v_fmac_f64_e32 v[110:111], s[2:3], v[114:115]
	v_fmac_f64_e32 v[112:113], s[6:7], v[116:117]
	;; [unrolled: 1-line block ×3, first 2 shown]
	v_add_f64 v[116:117], v[90:91], v[102:103]
	v_fmac_f64_e32 v[98:99], -0.5, v[116:117]
	v_fma_f64 v[116:117], s[8:9], v[114:115], v[98:99]
	v_fmac_f64_e32 v[98:99], s[10:11], v[114:115]
	v_fmac_f64_e32 v[116:117], s[12:13], v[100:101]
	;; [unrolled: 1-line block ×3, first 2 shown]
	v_add_f64 v[100:101], v[120:121], v[86:87]
	v_add_f64 v[100:101], v[100:101], v[84:85]
	v_add_f64 v[122:123], v[92:93], -v[90:91]
	v_add_f64 v[134:135], v[94:95], -v[102:103]
	v_add_f64 v[100:101], v[100:101], v[88:89]
	v_add_f64 v[122:123], v[122:123], v[134:135]
	;; [unrolled: 1-line block ×4, first 2 shown]
	v_fmac_f64_e32 v[116:117], s[6:7], v[122:123]
	v_fmac_f64_e32 v[98:99], s[6:7], v[122:123]
	v_fma_f64 v[122:123], -0.5, v[100:101], v[120:121]
	v_add_f64 v[90:91], v[90:91], -v[102:103]
	v_fma_f64 v[102:103], s[8:9], v[90:91], v[122:123]
	v_add_f64 v[92:93], v[92:93], -v[94:95]
	v_add_f64 v[94:95], v[86:87], -v[84:85]
	;; [unrolled: 1-line block ×3, first 2 shown]
	v_fmac_f64_e32 v[122:123], s[10:11], v[90:91]
	v_fmac_f64_e32 v[102:103], s[2:3], v[92:93]
	v_add_f64 v[94:95], v[94:95], v[100:101]
	v_fmac_f64_e32 v[122:123], s[12:13], v[92:93]
	v_fmac_f64_e32 v[102:103], s[6:7], v[94:95]
	;; [unrolled: 1-line block ×3, first 2 shown]
	v_add_f64 v[94:95], v[86:87], v[96:97]
	v_fmac_f64_e32 v[120:121], -0.5, v[94:95]
	v_fma_f64 v[134:135], s[10:11], v[92:93], v[120:121]
	v_add_f64 v[84:85], v[84:85], -v[86:87]
	v_add_f64 v[86:87], v[88:89], -v[96:97]
	v_fmac_f64_e32 v[120:121], s[8:9], v[92:93]
	v_add_f64 v[84:85], v[84:85], v[86:87]
	v_fmac_f64_e32 v[120:121], s[12:13], v[90:91]
	v_fmac_f64_e32 v[134:135], s[2:3], v[90:91]
	;; [unrolled: 1-line block ×3, first 2 shown]
	v_mul_f64 v[144:145], v[112:113], s[2:3]
	v_fmac_f64_e32 v[134:135], s[6:7], v[84:85]
	v_mul_f64 v[136:137], v[102:103], s[12:13]
	v_mul_f64 v[86:87], v[98:99], s[6:7]
	v_fmac_f64_e32 v[144:145], s[14:15], v[102:103]
	v_mul_f64 v[146:147], v[116:117], s[8:9]
	v_mul_f64 v[102:103], v[120:121], s[6:7]
	;; [unrolled: 1-line block ×3, first 2 shown]
	v_fma_f64 v[140:141], v[120:121], s[10:11], -v[86:87]
	v_mul_f64 v[86:87], v[110:111], s[14:15]
	v_fmac_f64_e32 v[146:147], s[6:7], v[134:135]
	v_fma_f64 v[134:135], v[98:99], s[8:9], -v[102:103]
	v_mul_f64 v[98:99], v[122:123], s[14:15]
	v_fmac_f64_e32 v[136:137], s[14:15], v[112:113]
	v_fmac_f64_e32 v[138:139], s[6:7], v[116:117]
	v_fma_f64 v[142:143], v[122:123], s[12:13], -v[86:87]
	v_fma_f64 v[120:121], v[110:111], s[2:3], -v[98:99]
	v_add_f64 v[92:93], v[104:105], v[108:109]
	v_add_f64 v[88:89], v[118:119], v[136:137]
	v_add_f64 v[84:85], v[130:131], v[138:139]
	v_add_f64 v[100:101], v[0:1], v[140:141]
	v_add_f64 v[96:97], v[106:107], v[142:143]
	v_add_f64 v[94:95], v[128:129], v[114:115]
	v_add_f64 v[90:91], v[124:125], v[144:145]
	v_add_f64 v[86:87], v[132:133], v[146:147]
	v_add_f64 v[102:103], v[2:3], v[134:135]
	v_add_f64 v[98:99], v[126:127], v[120:121]
	v_add_f64 v[112:113], v[104:105], -v[108:109]
	v_add_f64 v[108:109], v[118:119], -v[136:137]
	;; [unrolled: 1-line block ×10, first 2 shown]
	ds_write_b128 v244, v[16:19]
	ds_write_b128 v244, v[12:15] offset:4800
	ds_write_b128 v244, v[8:11] offset:9600
	ds_write_b128 v244, v[24:27] offset:14400
	ds_write_b128 v244, v[20:23] offset:19200
	ds_write_b128 v244, v[36:39] offset:24000
	ds_write_b128 v244, v[32:35] offset:28800
	ds_write_b128 v244, v[28:31] offset:33600
	ds_write_b128 v244, v[44:47] offset:38400
	ds_write_b128 v244, v[40:43] offset:43200
	ds_write_b128 v219, v[56:59]
	ds_write_b128 v219, v[52:55] offset:4800
	ds_write_b128 v219, v[48:51] offset:9600
	ds_write_b128 v219, v[64:67] offset:14400
	ds_write_b128 v219, v[60:63] offset:19200
	ds_write_b128 v219, v[76:79] offset:24000
	ds_write_b128 v219, v[72:75] offset:28800
	ds_write_b128 v219, v[68:71] offset:33600
	ds_write_b128 v219, v[80:83] offset:38400
	ds_write_b128 v219, v[4:7] offset:43200
	;; [unrolled: 10-line block ×3, first 2 shown]
	s_waitcnt lgkmcnt(0)
	s_barrier
	ds_read_b128 v[4:7], v244
	s_add_u32 s2, s4, 0xbae0
	v_accvgpr_read_b32 v0, a3
	s_addc_u32 s3, s5, 0
	v_sub_u32_e32 v20, 0, v0
                                        ; implicit-def: $vgpr2_vgpr3
                                        ; implicit-def: $vgpr12_vgpr13
	s_and_saveexec_b64 s[4:5], vcc
	s_xor_b64 s[4:5], exec, s[4:5]
	s_cbranch_execz .LBB0_15
; %bb.14:
	v_mov_b32_e32 v199, v221
	v_lshl_add_u64 v[0:1], v[198:199], 4, s[2:3]
	global_load_dwordx4 v[8:11], v[0:1], off
	ds_read_b128 v[0:3], v20 offset:48000
	s_waitcnt lgkmcnt(0)
	v_add_f64 v[14:15], v[4:5], v[0:1]
	v_add_f64 v[0:1], v[4:5], -v[0:1]
	v_add_f64 v[12:13], v[6:7], v[2:3]
	v_add_f64 v[2:3], v[6:7], -v[2:3]
	v_mul_f64 v[6:7], v[0:1], 0.5
	v_mul_f64 v[0:1], v[2:3], 0.5
	;; [unrolled: 1-line block ×3, first 2 shown]
	s_waitcnt vmcnt(0)
	v_mul_f64 v[2:3], v[6:7], v[10:11]
	v_fma_f64 v[16:17], 0.5, v[14:15], v[2:3]
	v_fma_f64 v[12:13], v[4:5], v[10:11], v[0:1]
	v_fma_f64 v[10:11], v[4:5], v[10:11], -v[0:1]
	v_fma_f64 v[0:1], v[14:15], 0.5, -v[2:3]
	v_fmac_f64_e32 v[16:17], v[4:5], v[8:9]
	v_fma_f64 v[12:13], -v[8:9], v[6:7], v[12:13]
	v_fma_f64 v[0:1], -v[4:5], v[8:9], v[0:1]
	ds_write_b64 v244, v[16:17]
	v_fma_f64 v[2:3], -v[8:9], v[6:7], v[10:11]
                                        ; implicit-def: $vgpr4_vgpr5
.LBB0_15:
	s_or_saveexec_b64 s[4:5], s[4:5]
	v_mul_i32_i24_e32 v14, 0xffffff70, v202
	v_mul_i32_i24_e32 v15, 0xffffff70, v218
	s_xor_b64 exec, exec, s[4:5]
	s_cbranch_execz .LBB0_17
; %bb.16:
	v_mov_b32_e32 v10, 0
	ds_read_b64 v[2:3], v10 offset:24008
	v_mov_b64_e32 v[12:13], 0
	s_waitcnt lgkmcnt(1)
	v_add_f64 v[8:9], v[4:5], v[6:7]
	v_add_f64 v[0:1], v[4:5], -v[6:7]
	ds_write_b64 v244, v[8:9]
	s_waitcnt lgkmcnt(1)
	v_xor_b32_e32 v3, 0x80000000, v3
	ds_write_b64 v10, v[2:3] offset:24008
	v_mov_b64_e32 v[2:3], v[12:13]
.LBB0_17:
	s_or_b64 exec, exec, s[4:5]
	v_mov_b32_e32 v203, 0
	s_waitcnt lgkmcnt(0)
	v_lshl_add_u64 v[4:5], v[202:203], 4, s[2:3]
	global_load_dwordx4 v[4:7], v[4:5], off
	v_mov_b32_e32 v219, v203
	v_lshl_add_u64 v[8:9], v[218:219], 4, s[2:3]
	global_load_dwordx4 v[22:25], v[8:9], off
	v_mov_b32_e32 v217, v203
	v_lshl_add_u64 v[8:9], v[216:217], 4, s[2:3]
	global_load_dwordx4 v[8:11], v[8:9], off
	ds_write_b64 v244, v[12:13] offset:8
	ds_write_b128 v20, v[0:3] offset:48000
	v_accvgpr_read_b32 v0, a11
	v_mov_b32_e32 v201, v203
	v_add_u32_e32 v21, v0, v14
	v_lshl_add_u64 v[0:1], v[200:201], 4, s[2:3]
	ds_read_b128 v[16:19], v21
	ds_read_b128 v[26:29], v20 offset:46400
	global_load_dwordx4 v[0:3], v[0:1], off
	v_add_u32_e32 v32, v245, v15
	v_add_u32_e32 v202, 0x3e8, v198
	s_waitcnt lgkmcnt(0)
	v_add_f64 v[14:15], v[16:17], -v[26:27]
	v_add_f64 v[30:31], v[16:17], v[26:27]
	v_add_f64 v[12:13], v[18:19], v[28:29]
	v_add_f64 v[16:17], v[18:19], -v[28:29]
	v_mul_f64 v[26:27], v[14:15], 0.5
	v_mul_f64 v[18:19], v[12:13], 0.5
	;; [unrolled: 1-line block ×3, first 2 shown]
	s_waitcnt vmcnt(3)
	v_mul_f64 v[16:17], v[26:27], v[6:7]
	v_fma_f64 v[14:15], v[18:19], v[6:7], v[12:13]
	v_fma_f64 v[6:7], v[18:19], v[6:7], -v[12:13]
	v_fma_f64 v[12:13], 0.5, v[30:31], v[16:17]
	v_fma_f64 v[14:15], -v[4:5], v[26:27], v[14:15]
	v_fma_f64 v[16:17], v[30:31], 0.5, -v[16:17]
	v_fmac_f64_e32 v[12:13], v[18:19], v[4:5]
	v_fma_f64 v[6:7], -v[4:5], v[26:27], v[6:7]
	v_fma_f64 v[4:5], -v[18:19], v[4:5], v[16:17]
	ds_write_b128 v21, v[12:15]
	ds_write_b128 v20, v[4:7] offset:46400
	v_accvgpr_read_b32 v16, a8
	v_mov_b32_e32 v17, v203
	ds_read_b128 v[4:7], v32
	ds_read_b128 v[12:15], v20 offset:44800
	v_lshl_add_u64 v[16:17], v[16:17], 4, s[2:3]
	global_load_dwordx4 v[16:19], v[16:17], off
	v_mov_b32_e32 v21, v255
	s_waitcnt lgkmcnt(0)
	v_add_f64 v[26:27], v[4:5], v[12:13]
	v_add_f64 v[4:5], v[4:5], -v[12:13]
	v_add_f64 v[28:29], v[6:7], v[14:15]
	v_add_f64 v[6:7], v[6:7], -v[14:15]
	v_mul_f64 v[14:15], v[4:5], 0.5
	v_mul_f64 v[12:13], v[28:29], 0.5
	;; [unrolled: 1-line block ×3, first 2 shown]
	s_waitcnt vmcnt(3)
	v_mul_f64 v[28:29], v[14:15], v[24:25]
	v_fma_f64 v[6:7], v[12:13], v[24:25], v[4:5]
	v_fma_f64 v[24:25], v[12:13], v[24:25], -v[4:5]
	v_fma_f64 v[4:5], 0.5, v[26:27], v[28:29]
	v_fma_f64 v[6:7], -v[22:23], v[14:15], v[6:7]
	v_fma_f64 v[26:27], v[26:27], 0.5, -v[28:29]
	v_fmac_f64_e32 v[4:5], v[12:13], v[22:23]
	v_fma_f64 v[14:15], -v[22:23], v[14:15], v[24:25]
	v_fma_f64 v[12:13], -v[12:13], v[22:23], v[26:27]
	ds_write_b128 v32, v[4:7]
	ds_write_b128 v20, v[12:15] offset:44800
	ds_read_b128 v[12:15], v255
	ds_read_b128 v[22:25], v20 offset:43200
	v_mov_b32_e32 v255, v203
	v_lshl_add_u64 v[4:5], v[254:255], 4, s[2:3]
	global_load_dwordx4 v[4:7], v[4:5], off
	s_waitcnt lgkmcnt(0)
	v_add_f64 v[26:27], v[12:13], v[22:23]
	v_add_f64 v[12:13], v[12:13], -v[22:23]
	v_add_f64 v[28:29], v[14:15], v[24:25]
	v_add_f64 v[14:15], v[14:15], -v[24:25]
	v_mul_f64 v[24:25], v[12:13], 0.5
	v_mul_f64 v[22:23], v[28:29], 0.5
	;; [unrolled: 1-line block ×3, first 2 shown]
	s_waitcnt vmcnt(3)
	v_mul_f64 v[14:15], v[24:25], v[10:11]
	v_fma_f64 v[28:29], v[22:23], v[10:11], v[12:13]
	v_fma_f64 v[30:31], v[22:23], v[10:11], -v[12:13]
	v_fma_f64 v[10:11], 0.5, v[26:27], v[14:15]
	v_fma_f64 v[14:15], v[26:27], 0.5, -v[14:15]
	v_fma_f64 v[12:13], -v[8:9], v[24:25], v[28:29]
	v_fma_f64 v[24:25], -v[8:9], v[24:25], v[30:31]
	v_fmac_f64_e32 v[10:11], v[22:23], v[8:9]
	v_fma_f64 v[22:23], -v[22:23], v[8:9], v[14:15]
	v_accvgpr_read_b32 v8, a6
	v_mov_b32_e32 v9, v203
	ds_write_b128 v21, v[10:13]
	ds_write_b128 v20, v[22:25] offset:43200
	v_accvgpr_read_b32 v21, a9
	v_lshl_add_u64 v[8:9], v[8:9], 4, s[2:3]
	ds_read_b128 v[12:15], v21
	ds_read_b128 v[22:25], v20 offset:41600
	global_load_dwordx4 v[8:11], v[8:9], off
	s_waitcnt lgkmcnt(0)
	v_add_f64 v[26:27], v[12:13], v[22:23]
	v_add_f64 v[12:13], v[12:13], -v[22:23]
	v_add_f64 v[28:29], v[14:15], v[24:25]
	v_add_f64 v[14:15], v[14:15], -v[24:25]
	v_mul_f64 v[24:25], v[12:13], 0.5
	v_mul_f64 v[22:23], v[28:29], 0.5
	;; [unrolled: 1-line block ×3, first 2 shown]
	s_waitcnt vmcnt(3)
	v_mul_f64 v[28:29], v[24:25], v[2:3]
	v_fma_f64 v[14:15], v[22:23], v[2:3], v[12:13]
	v_fma_f64 v[2:3], v[22:23], v[2:3], -v[12:13]
	v_fma_f64 v[12:13], 0.5, v[26:27], v[28:29]
	v_fma_f64 v[14:15], -v[0:1], v[24:25], v[14:15]
	v_fma_f64 v[26:27], v[26:27], 0.5, -v[28:29]
	v_fmac_f64_e32 v[12:13], v[22:23], v[0:1]
	v_fma_f64 v[2:3], -v[0:1], v[24:25], v[2:3]
	v_fma_f64 v[0:1], -v[22:23], v[0:1], v[26:27]
	ds_write_b128 v21, v[12:15]
	ds_write_b128 v20, v[0:3] offset:41600
	v_accvgpr_read_b32 v12, a4
	v_mov_b32_e32 v13, v203
	v_accvgpr_read_b32 v21, a7
	v_lshl_add_u64 v[12:13], v[12:13], 4, s[2:3]
	ds_read_b128 v[0:3], v21
	ds_read_b128 v[22:25], v20 offset:40000
	global_load_dwordx4 v[12:15], v[12:13], off
	s_waitcnt lgkmcnt(0)
	v_add_f64 v[26:27], v[0:1], v[22:23]
	v_add_f64 v[0:1], v[0:1], -v[22:23]
	v_add_f64 v[28:29], v[2:3], v[24:25]
	v_add_f64 v[2:3], v[2:3], -v[24:25]
	v_mul_f64 v[24:25], v[0:1], 0.5
	v_mul_f64 v[22:23], v[28:29], 0.5
	;; [unrolled: 1-line block ×3, first 2 shown]
	s_waitcnt vmcnt(3)
	v_mul_f64 v[28:29], v[24:25], v[18:19]
	v_fma_f64 v[2:3], v[22:23], v[18:19], v[0:1]
	v_fma_f64 v[18:19], v[22:23], v[18:19], -v[0:1]
	v_fma_f64 v[0:1], 0.5, v[26:27], v[28:29]
	v_fma_f64 v[2:3], -v[16:17], v[24:25], v[2:3]
	v_fma_f64 v[26:27], v[26:27], 0.5, -v[28:29]
	v_fmac_f64_e32 v[0:1], v[22:23], v[16:17]
	v_fma_f64 v[18:19], -v[16:17], v[24:25], v[18:19]
	v_fma_f64 v[16:17], -v[22:23], v[16:17], v[26:27]
	ds_write_b128 v21, v[0:3]
	ds_write_b128 v20, v[16:19] offset:40000
	v_accvgpr_read_b32 v0, a2
	v_mov_b32_e32 v1, v203
	v_accvgpr_read_b32 v21, a5
	v_lshl_add_u64 v[0:1], v[0:1], 4, s[2:3]
	ds_read_b128 v[16:19], v21
	ds_read_b128 v[22:25], v20 offset:38400
	global_load_dwordx4 v[0:3], v[0:1], off
	s_waitcnt lgkmcnt(0)
	v_add_f64 v[26:27], v[16:17], v[22:23]
	v_add_f64 v[16:17], v[16:17], -v[22:23]
	v_add_f64 v[28:29], v[18:19], v[24:25]
	v_add_f64 v[18:19], v[18:19], -v[24:25]
	v_mul_f64 v[24:25], v[16:17], 0.5
	v_mul_f64 v[22:23], v[28:29], 0.5
	v_mul_f64 v[28:29], v[18:19], 0.5
	s_waitcnt vmcnt(3)
	v_mul_f64 v[30:31], v[24:25], v[6:7]
	v_fma_f64 v[16:17], 0.5, v[26:27], v[30:31]
	v_fma_f64 v[18:19], v[22:23], v[6:7], v[28:29]
	v_fmac_f64_e32 v[16:17], v[22:23], v[4:5]
	v_fma_f64 v[18:19], -v[4:5], v[24:25], v[18:19]
	ds_write_b128 v21, v[16:19]
	v_fma_f64 v[16:17], v[26:27], 0.5, -v[30:31]
	v_fma_f64 v[6:7], v[22:23], v[6:7], -v[28:29]
	v_fma_f64 v[16:17], -v[22:23], v[4:5], v[16:17]
	v_fma_f64 v[18:19], -v[4:5], v[24:25], v[6:7]
	ds_write_b128 v20, v[16:19] offset:38400
	v_accvgpr_read_b32 v21, a10
	v_lshl_add_u64 v[4:5], v[202:203], 4, s[2:3]
	ds_read_b128 v[16:19], v21
	ds_read_b128 v[22:25], v20 offset:36800
	global_load_dwordx4 v[4:7], v[4:5], off
	v_add_u32_e32 v202, 0x44c, v198
	s_waitcnt lgkmcnt(0)
	v_add_f64 v[26:27], v[16:17], v[22:23]
	v_add_f64 v[16:17], v[16:17], -v[22:23]
	v_add_f64 v[28:29], v[18:19], v[24:25]
	v_add_f64 v[18:19], v[18:19], -v[24:25]
	v_mul_f64 v[22:23], v[16:17], 0.5
	v_mul_f64 v[28:29], v[28:29], 0.5
	v_mul_f64 v[24:25], v[18:19], 0.5
	s_waitcnt vmcnt(3)
	v_mul_f64 v[30:31], v[22:23], v[10:11]
	v_fma_f64 v[16:17], 0.5, v[26:27], v[30:31]
	v_fma_f64 v[18:19], v[28:29], v[10:11], v[24:25]
	v_fmac_f64_e32 v[16:17], v[28:29], v[8:9]
	v_fma_f64 v[18:19], -v[8:9], v[22:23], v[18:19]
	ds_write_b128 v21, v[16:19]
	v_fma_f64 v[16:17], v[26:27], 0.5, -v[30:31]
	v_fma_f64 v[10:11], v[28:29], v[10:11], -v[24:25]
	v_fma_f64 v[16:17], -v[28:29], v[8:9], v[16:17]
	v_fma_f64 v[18:19], -v[8:9], v[22:23], v[10:11]
	ds_write_b128 v20, v[16:19] offset:36800
	v_accvgpr_read_b32 v21, a12
	v_lshl_add_u64 v[8:9], v[202:203], 4, s[2:3]
	ds_read_b128 v[16:19], v21
	ds_read_b128 v[22:25], v20 offset:35200
	global_load_dwordx4 v[8:11], v[8:9], off
	v_add_u32_e32 v202, 0x4b0, v198
	;; [unrolled: 26-line block ×3, first 2 shown]
	s_waitcnt lgkmcnt(0)
	v_add_f64 v[26:27], v[12:13], v[16:17]
	v_add_f64 v[12:13], v[12:13], -v[16:17]
	v_add_f64 v[28:29], v[14:15], v[18:19]
	v_add_f64 v[14:15], v[14:15], -v[18:19]
	v_mul_f64 v[16:17], v[12:13], 0.5
	v_mul_f64 v[28:29], v[28:29], 0.5
	;; [unrolled: 1-line block ×3, first 2 shown]
	s_waitcnt vmcnt(3)
	v_mul_f64 v[30:31], v[16:17], v[2:3]
	v_fma_f64 v[12:13], 0.5, v[26:27], v[30:31]
	v_fma_f64 v[14:15], v[28:29], v[2:3], v[18:19]
	v_fmac_f64_e32 v[12:13], v[28:29], v[0:1]
	v_fma_f64 v[14:15], -v[0:1], v[16:17], v[14:15]
	ds_write_b128 v21, v[12:15]
	v_fma_f64 v[12:13], v[26:27], 0.5, -v[30:31]
	v_fma_f64 v[2:3], v[28:29], v[2:3], -v[18:19]
	v_fma_f64 v[12:13], -v[28:29], v[0:1], v[12:13]
	v_fma_f64 v[14:15], -v[0:1], v[16:17], v[2:3]
	ds_write_b128 v20, v[12:15] offset:33600
	v_lshl_add_u64 v[16:17], v[202:203], 4, s[2:3]
	ds_read_b128 v[0:3], v244 offset:16000
	ds_read_b128 v[12:15], v20 offset:32000
	global_load_dwordx4 v[16:19], v[16:17], off
	v_add_u32_e32 v202, 0x578, v198
	s_waitcnt lgkmcnt(0)
	v_add_f64 v[26:27], v[0:1], v[12:13]
	v_add_f64 v[0:1], v[0:1], -v[12:13]
	v_add_f64 v[28:29], v[2:3], v[14:15]
	v_add_f64 v[2:3], v[2:3], -v[14:15]
	v_mul_f64 v[12:13], v[0:1], 0.5
	v_mul_f64 v[28:29], v[28:29], 0.5
	;; [unrolled: 1-line block ×3, first 2 shown]
	s_waitcnt vmcnt(3)
	v_mul_f64 v[30:31], v[12:13], v[6:7]
	v_fma_f64 v[0:1], 0.5, v[26:27], v[30:31]
	v_fma_f64 v[2:3], v[28:29], v[6:7], v[14:15]
	v_fmac_f64_e32 v[0:1], v[28:29], v[4:5]
	v_fma_f64 v[2:3], -v[4:5], v[12:13], v[2:3]
	ds_write_b128 v244, v[0:3] offset:16000
	v_fma_f64 v[0:1], v[26:27], 0.5, -v[30:31]
	v_fma_f64 v[2:3], v[28:29], v[6:7], -v[14:15]
	v_fma_f64 v[0:1], -v[28:29], v[4:5], v[0:1]
	v_fma_f64 v[2:3], -v[4:5], v[12:13], v[2:3]
	ds_write_b128 v20, v[0:3] offset:32000
	v_lshl_add_u64 v[12:13], v[202:203], 4, s[2:3]
	ds_read_b128 v[0:3], v244 offset:17600
	ds_read_b128 v[4:7], v20 offset:30400
	global_load_dwordx4 v[12:15], v[12:13], off
	s_waitcnt lgkmcnt(0)
	v_add_f64 v[26:27], v[0:1], v[4:5]
	v_add_f64 v[0:1], v[0:1], -v[4:5]
	v_add_f64 v[28:29], v[2:3], v[6:7]
	v_add_f64 v[2:3], v[2:3], -v[6:7]
	v_mul_f64 v[4:5], v[0:1], 0.5
	v_mul_f64 v[28:29], v[28:29], 0.5
	v_mul_f64 v[6:7], v[2:3], 0.5
	s_waitcnt vmcnt(3)
	v_mul_f64 v[30:31], v[4:5], v[10:11]
	v_fma_f64 v[0:1], 0.5, v[26:27], v[30:31]
	v_fma_f64 v[2:3], v[28:29], v[10:11], v[6:7]
	v_fmac_f64_e32 v[0:1], v[28:29], v[8:9]
	v_fma_f64 v[2:3], -v[8:9], v[4:5], v[2:3]
	ds_write_b128 v244, v[0:3] offset:17600
	v_fma_f64 v[0:1], v[26:27], 0.5, -v[30:31]
	v_fma_f64 v[2:3], v[28:29], v[10:11], -v[6:7]
	v_fma_f64 v[0:1], -v[28:29], v[8:9], v[0:1]
	v_fma_f64 v[2:3], -v[8:9], v[4:5], v[2:3]
	ds_write_b128 v20, v[0:3] offset:30400
	ds_read_b128 v[0:3], v244 offset:19200
	ds_read_b128 v[4:7], v20 offset:28800
	s_waitcnt lgkmcnt(0)
	v_add_f64 v[8:9], v[0:1], v[4:5]
	v_add_f64 v[0:1], v[0:1], -v[4:5]
	v_add_f64 v[10:11], v[2:3], v[6:7]
	v_add_f64 v[2:3], v[2:3], -v[6:7]
	v_mul_f64 v[4:5], v[0:1], 0.5
	v_mul_f64 v[10:11], v[10:11], 0.5
	v_mul_f64 v[6:7], v[2:3], 0.5
	s_waitcnt vmcnt(2)
	v_mul_f64 v[26:27], v[4:5], v[24:25]
	v_fma_f64 v[0:1], 0.5, v[8:9], v[26:27]
	v_fma_f64 v[2:3], v[10:11], v[24:25], v[6:7]
	v_fmac_f64_e32 v[0:1], v[10:11], v[22:23]
	v_fma_f64 v[2:3], -v[22:23], v[4:5], v[2:3]
	ds_write_b128 v244, v[0:3] offset:19200
	v_fma_f64 v[0:1], v[8:9], 0.5, -v[26:27]
	v_fma_f64 v[2:3], v[10:11], v[24:25], -v[6:7]
	v_fma_f64 v[0:1], -v[10:11], v[22:23], v[0:1]
	v_fma_f64 v[2:3], -v[22:23], v[4:5], v[2:3]
	ds_write_b128 v20, v[0:3] offset:28800
	ds_read_b128 v[0:3], v244 offset:20800
	ds_read_b128 v[4:7], v20 offset:27200
	;; [unrolled: 22-line block ×3, first 2 shown]
	s_waitcnt lgkmcnt(0)
	v_add_f64 v[8:9], v[0:1], v[4:5]
	v_add_f64 v[0:1], v[0:1], -v[4:5]
	v_add_f64 v[10:11], v[2:3], v[6:7]
	v_add_f64 v[2:3], v[2:3], -v[6:7]
	v_mul_f64 v[4:5], v[0:1], 0.5
	v_mul_f64 v[10:11], v[10:11], 0.5
	;; [unrolled: 1-line block ×3, first 2 shown]
	s_waitcnt vmcnt(0)
	v_mul_f64 v[16:17], v[4:5], v[14:15]
	v_fma_f64 v[0:1], 0.5, v[8:9], v[16:17]
	v_fma_f64 v[2:3], v[10:11], v[14:15], v[6:7]
	v_fmac_f64_e32 v[0:1], v[10:11], v[12:13]
	v_fma_f64 v[2:3], -v[12:13], v[4:5], v[2:3]
	ds_write_b128 v244, v[0:3] offset:22400
	v_fma_f64 v[0:1], v[8:9], 0.5, -v[16:17]
	v_fma_f64 v[2:3], v[10:11], v[14:15], -v[6:7]
	v_fma_f64 v[0:1], -v[10:11], v[12:13], v[0:1]
	v_fma_f64 v[2:3], -v[12:13], v[4:5], v[2:3]
	ds_write_b128 v20, v[0:3] offset:25600
	s_waitcnt lgkmcnt(0)
	s_barrier
	s_and_saveexec_b64 s[2:3], s[0:1]
	s_cbranch_execz .LBB0_20
; %bb.18:
	ds_read_b128 v[0:3], v244
	ds_read_b128 v[4:7], v244 offset:1600
	ds_read_b128 v[8:11], v244 offset:3200
	v_accvgpr_read_b32 v13, a1
	v_mov_b32_e32 v199, v203
	v_accvgpr_read_b32 v12, a0
	v_lshl_add_u64 v[16:17], v[198:199], 4, v[12:13]
	ds_read_b128 v[12:15], v244 offset:46400
	s_waitcnt lgkmcnt(3)
	global_store_dwordx4 v[16:17], v[0:3], off
	s_waitcnt lgkmcnt(2)
	global_store_dwordx4 v[16:17], v[4:7], off offset:1600
	s_waitcnt lgkmcnt(1)
	global_store_dwordx4 v[16:17], v[8:11], off offset:3200
	ds_read_b128 v[0:3], v244 offset:4800
	ds_read_b128 v[4:7], v244 offset:6400
	;; [unrolled: 1-line block ×3, first 2 shown]
	v_add_co_u32_e32 v18, vcc, 0x1000, v16
	s_movk_i32 s0, 0x63
	s_nop 0
	v_addc_co_u32_e32 v19, vcc, 0, v17, vcc
	s_waitcnt lgkmcnt(2)
	global_store_dwordx4 v[18:19], v[0:3], off offset:704
	s_waitcnt lgkmcnt(1)
	global_store_dwordx4 v[18:19], v[4:7], off offset:2304
	ds_read_b128 v[0:3], v244 offset:9600
	ds_read_b128 v[4:7], v244 offset:11200
	s_waitcnt lgkmcnt(2)
	global_store_dwordx4 v[18:19], v[8:11], off offset:3904
	s_nop 1
	v_add_co_u32_e32 v8, vcc, 0x2000, v16
	s_nop 1
	v_addc_co_u32_e32 v9, vcc, 0, v17, vcc
	s_waitcnt lgkmcnt(1)
	global_store_dwordx4 v[8:9], v[0:3], off offset:1408
	s_waitcnt lgkmcnt(0)
	global_store_dwordx4 v[8:9], v[4:7], off offset:3008
	ds_read_b128 v[0:3], v244 offset:12800
	ds_read_b128 v[4:7], v244 offset:14400
	;; [unrolled: 1-line block ×3, first 2 shown]
	v_add_co_u32_e32 v18, vcc, 0x3000, v16
	s_nop 1
	v_addc_co_u32_e32 v19, vcc, 0, v17, vcc
	s_waitcnt lgkmcnt(2)
	global_store_dwordx4 v[18:19], v[0:3], off offset:512
	s_waitcnt lgkmcnt(1)
	global_store_dwordx4 v[18:19], v[4:7], off offset:2112
	;; [unrolled: 2-line block ×3, first 2 shown]
	ds_read_b128 v[0:3], v244 offset:17600
	ds_read_b128 v[4:7], v244 offset:19200
	v_add_co_u32_e32 v8, vcc, 0x4000, v16
	s_nop 1
	v_addc_co_u32_e32 v9, vcc, 0, v17, vcc
	s_waitcnt lgkmcnt(1)
	global_store_dwordx4 v[8:9], v[0:3], off offset:1216
	s_waitcnt lgkmcnt(0)
	global_store_dwordx4 v[8:9], v[4:7], off offset:2816
	ds_read_b128 v[0:3], v244 offset:20800
	ds_read_b128 v[4:7], v244 offset:22400
	;; [unrolled: 1-line block ×3, first 2 shown]
	v_add_co_u32_e32 v18, vcc, 0x5000, v16
	s_nop 1
	v_addc_co_u32_e32 v19, vcc, 0, v17, vcc
	s_waitcnt lgkmcnt(2)
	global_store_dwordx4 v[18:19], v[0:3], off offset:320
	s_waitcnt lgkmcnt(1)
	global_store_dwordx4 v[18:19], v[4:7], off offset:1920
	ds_read_b128 v[0:3], v244 offset:25600
	ds_read_b128 v[4:7], v244 offset:27200
	s_waitcnt lgkmcnt(2)
	global_store_dwordx4 v[18:19], v[8:11], off offset:3520
	s_nop 1
	v_add_co_u32_e32 v8, vcc, 0x6000, v16
	s_nop 1
	v_addc_co_u32_e32 v9, vcc, 0, v17, vcc
	s_waitcnt lgkmcnt(1)
	global_store_dwordx4 v[8:9], v[0:3], off offset:1024
	s_waitcnt lgkmcnt(0)
	global_store_dwordx4 v[8:9], v[4:7], off offset:2624
	ds_read_b128 v[0:3], v244 offset:28800
	ds_read_b128 v[4:7], v244 offset:30400
	;; [unrolled: 1-line block ×3, first 2 shown]
	v_add_co_u32_e32 v18, vcc, 0x7000, v16
	s_nop 1
	v_addc_co_u32_e32 v19, vcc, 0, v17, vcc
	s_waitcnt lgkmcnt(2)
	global_store_dwordx4 v[18:19], v[0:3], off offset:128
	s_waitcnt lgkmcnt(1)
	global_store_dwordx4 v[18:19], v[4:7], off offset:1728
	;; [unrolled: 2-line block ×3, first 2 shown]
	ds_read_b128 v[0:3], v244 offset:33600
	ds_read_b128 v[4:7], v244 offset:35200
	;; [unrolled: 1-line block ×3, first 2 shown]
	v_add_co_u32_e32 v18, vcc, 0x8000, v16
	s_nop 1
	v_addc_co_u32_e32 v19, vcc, 0, v17, vcc
	s_waitcnt lgkmcnt(2)
	global_store_dwordx4 v[18:19], v[0:3], off offset:832
	s_waitcnt lgkmcnt(1)
	global_store_dwordx4 v[18:19], v[4:7], off offset:2432
	ds_read_b128 v[0:3], v244 offset:38400
	ds_read_b128 v[4:7], v244 offset:40000
	s_waitcnt lgkmcnt(2)
	global_store_dwordx4 v[18:19], v[8:11], off offset:4032
	s_nop 1
	v_add_co_u32_e32 v8, vcc, 0x9000, v16
	s_nop 1
	v_addc_co_u32_e32 v9, vcc, 0, v17, vcc
	s_waitcnt lgkmcnt(1)
	global_store_dwordx4 v[8:9], v[0:3], off offset:1536
	s_waitcnt lgkmcnt(0)
	global_store_dwordx4 v[8:9], v[4:7], off offset:3136
	ds_read_b128 v[0:3], v244 offset:41600
	ds_read_b128 v[4:7], v244 offset:43200
	;; [unrolled: 1-line block ×3, first 2 shown]
	v_add_co_u32_e32 v18, vcc, 0xa000, v16
	s_nop 1
	v_addc_co_u32_e32 v19, vcc, 0, v17, vcc
	s_waitcnt lgkmcnt(2)
	global_store_dwordx4 v[18:19], v[0:3], off offset:640
	s_waitcnt lgkmcnt(1)
	global_store_dwordx4 v[18:19], v[4:7], off offset:2240
	;; [unrolled: 2-line block ×3, first 2 shown]
	v_add_co_u32_e32 v0, vcc, 0xb000, v16
	s_nop 1
	v_addc_co_u32_e32 v1, vcc, 0, v17, vcc
	v_cmp_eq_u32_e32 vcc, s0, v198
	global_store_dwordx4 v[0:1], v[12:15], off offset:1344
	s_and_b64 exec, exec, vcc
	s_cbranch_execz .LBB0_20
; %bb.19:
	v_mov_b32_e32 v0, 0
	ds_read_b128 v[0:3], v0 offset:48000
	v_accvgpr_read_b32 v5, a1
	v_accvgpr_read_b32 v4, a0
	v_add_co_u32_e32 v4, vcc, 0xb000, v4
	s_nop 1
	v_addc_co_u32_e32 v5, vcc, 0, v5, vcc
	s_waitcnt lgkmcnt(0)
	global_store_dwordx4 v[4:5], v[0:3], off offset:2944
.LBB0_20:
	s_endpgm
	.section	.rodata,"a",@progbits
	.p2align	6, 0x0
	.amdhsa_kernel fft_rtc_fwd_len3000_factors_10_3_10_10_wgs_100_tpt_100_halfLds_dp_ip_CI_unitstride_sbrr_R2C_dirReg
		.amdhsa_group_segment_fixed_size 0
		.amdhsa_private_segment_fixed_size 0
		.amdhsa_kernarg_size 88
		.amdhsa_user_sgpr_count 2
		.amdhsa_user_sgpr_dispatch_ptr 0
		.amdhsa_user_sgpr_queue_ptr 0
		.amdhsa_user_sgpr_kernarg_segment_ptr 1
		.amdhsa_user_sgpr_dispatch_id 0
		.amdhsa_user_sgpr_kernarg_preload_length 0
		.amdhsa_user_sgpr_kernarg_preload_offset 0
		.amdhsa_user_sgpr_private_segment_size 0
		.amdhsa_uses_dynamic_stack 0
		.amdhsa_enable_private_segment 0
		.amdhsa_system_sgpr_workgroup_id_x 1
		.amdhsa_system_sgpr_workgroup_id_y 0
		.amdhsa_system_sgpr_workgroup_id_z 0
		.amdhsa_system_sgpr_workgroup_info 0
		.amdhsa_system_vgpr_workitem_id 0
		.amdhsa_next_free_vgpr 270
		.amdhsa_next_free_sgpr 22
		.amdhsa_accum_offset 256
		.amdhsa_reserve_vcc 1
		.amdhsa_float_round_mode_32 0
		.amdhsa_float_round_mode_16_64 0
		.amdhsa_float_denorm_mode_32 3
		.amdhsa_float_denorm_mode_16_64 3
		.amdhsa_dx10_clamp 1
		.amdhsa_ieee_mode 1
		.amdhsa_fp16_overflow 0
		.amdhsa_tg_split 0
		.amdhsa_exception_fp_ieee_invalid_op 0
		.amdhsa_exception_fp_denorm_src 0
		.amdhsa_exception_fp_ieee_div_zero 0
		.amdhsa_exception_fp_ieee_overflow 0
		.amdhsa_exception_fp_ieee_underflow 0
		.amdhsa_exception_fp_ieee_inexact 0
		.amdhsa_exception_int_div_zero 0
	.end_amdhsa_kernel
	.text
.Lfunc_end0:
	.size	fft_rtc_fwd_len3000_factors_10_3_10_10_wgs_100_tpt_100_halfLds_dp_ip_CI_unitstride_sbrr_R2C_dirReg, .Lfunc_end0-fft_rtc_fwd_len3000_factors_10_3_10_10_wgs_100_tpt_100_halfLds_dp_ip_CI_unitstride_sbrr_R2C_dirReg
                                        ; -- End function
	.section	.AMDGPU.csdata,"",@progbits
; Kernel info:
; codeLenInByte = 22256
; NumSgprs: 28
; NumVgprs: 256
; NumAgprs: 14
; TotalNumVgprs: 270
; ScratchSize: 0
; MemoryBound: 0
; FloatMode: 240
; IeeeMode: 1
; LDSByteSize: 0 bytes/workgroup (compile time only)
; SGPRBlocks: 3
; VGPRBlocks: 33
; NumSGPRsForWavesPerEU: 28
; NumVGPRsForWavesPerEU: 270
; AccumOffset: 256
; Occupancy: 1
; WaveLimiterHint : 1
; COMPUTE_PGM_RSRC2:SCRATCH_EN: 0
; COMPUTE_PGM_RSRC2:USER_SGPR: 2
; COMPUTE_PGM_RSRC2:TRAP_HANDLER: 0
; COMPUTE_PGM_RSRC2:TGID_X_EN: 1
; COMPUTE_PGM_RSRC2:TGID_Y_EN: 0
; COMPUTE_PGM_RSRC2:TGID_Z_EN: 0
; COMPUTE_PGM_RSRC2:TIDIG_COMP_CNT: 0
; COMPUTE_PGM_RSRC3_GFX90A:ACCUM_OFFSET: 63
; COMPUTE_PGM_RSRC3_GFX90A:TG_SPLIT: 0
	.text
	.p2alignl 6, 3212836864
	.fill 256, 4, 3212836864
	.type	__hip_cuid_3a2cc6a9e51bd0b5,@object ; @__hip_cuid_3a2cc6a9e51bd0b5
	.section	.bss,"aw",@nobits
	.globl	__hip_cuid_3a2cc6a9e51bd0b5
__hip_cuid_3a2cc6a9e51bd0b5:
	.byte	0                               ; 0x0
	.size	__hip_cuid_3a2cc6a9e51bd0b5, 1

	.ident	"AMD clang version 19.0.0git (https://github.com/RadeonOpenCompute/llvm-project roc-6.4.0 25133 c7fe45cf4b819c5991fe208aaa96edf142730f1d)"
	.section	".note.GNU-stack","",@progbits
	.addrsig
	.addrsig_sym __hip_cuid_3a2cc6a9e51bd0b5
	.amdgpu_metadata
---
amdhsa.kernels:
  - .agpr_count:     14
    .args:
      - .actual_access:  read_only
        .address_space:  global
        .offset:         0
        .size:           8
        .value_kind:     global_buffer
      - .offset:         8
        .size:           8
        .value_kind:     by_value
      - .actual_access:  read_only
        .address_space:  global
        .offset:         16
        .size:           8
        .value_kind:     global_buffer
      - .actual_access:  read_only
        .address_space:  global
        .offset:         24
        .size:           8
        .value_kind:     global_buffer
      - .offset:         32
        .size:           8
        .value_kind:     by_value
      - .actual_access:  read_only
        .address_space:  global
        .offset:         40
        .size:           8
        .value_kind:     global_buffer
      - .actual_access:  read_only
        .address_space:  global
        .offset:         48
        .size:           8
        .value_kind:     global_buffer
      - .offset:         56
        .size:           4
        .value_kind:     by_value
      - .actual_access:  read_only
        .address_space:  global
        .offset:         64
        .size:           8
        .value_kind:     global_buffer
      - .actual_access:  read_only
        .address_space:  global
        .offset:         72
        .size:           8
        .value_kind:     global_buffer
      - .address_space:  global
        .offset:         80
        .size:           8
        .value_kind:     global_buffer
    .group_segment_fixed_size: 0
    .kernarg_segment_align: 8
    .kernarg_segment_size: 88
    .language:       OpenCL C
    .language_version:
      - 2
      - 0
    .max_flat_workgroup_size: 100
    .name:           fft_rtc_fwd_len3000_factors_10_3_10_10_wgs_100_tpt_100_halfLds_dp_ip_CI_unitstride_sbrr_R2C_dirReg
    .private_segment_fixed_size: 0
    .sgpr_count:     28
    .sgpr_spill_count: 0
    .symbol:         fft_rtc_fwd_len3000_factors_10_3_10_10_wgs_100_tpt_100_halfLds_dp_ip_CI_unitstride_sbrr_R2C_dirReg.kd
    .uniform_work_group_size: 1
    .uses_dynamic_stack: false
    .vgpr_count:     270
    .vgpr_spill_count: 0
    .wavefront_size: 64
amdhsa.target:   amdgcn-amd-amdhsa--gfx950
amdhsa.version:
  - 1
  - 2
...

	.end_amdgpu_metadata
